;; amdgpu-corpus repo=ROCm/aiter kind=harvested arch=n/a opt=n/a

/root/src/amdgpu-assembly/repos/ROCm__aiter/hsa/gfx950/mla/mla_a8w8_qh64_qseqlen1_gqaratio64_lse_v3_ps.co:	file format elf64-amdgpu

Disassembly of section .text:

0000000000002400 <_ZN5aiter43mla_a8w8_qh64_qseqlen1_gqaratio64_lse_v3_psE>:
	s_and_b32 s1, s1, 0xffff                                   // 000000002400: 8601FF01 0000FFFF
	s_load_dwordx2 s[28:29], s[0:1], 0xe0                      // 000000002408: C0060700 000000E0
	v_lshrrev_b32_e32 v1, 10, v0                               // 000000002410: 2002008A
	v_lshrrev_b32_e32 v2, 10, v1                               // 000000002414: 2004028A
	v_and_b32_e32 v2, 0x3ff, v2                                // 000000002418: 260404FF 000003FF
	v_and_b32_e32 v1, 0x3ff, v1                                // 000000002420: 260202FF 000003FF
	v_and_b32_e32 v0, 0x3ff, v0                                // 000000002428: 260000FF 000003FF
	v_lshrrev_b32_e32 v3, 6, v0                                // 000000002430: 20060086
	v_and_b32_e32 v0, 63, v0                                   // 000000002434: 260000BF
	s_mov_b32 s2, s2                                           // 000000002438: BE820002
	s_mov_b32 s3, s3                                           // 00000000243C: BE830003
	s_mov_b32 s4, s4                                           // 000000002440: BE840004
	v_readfirstlane_b32 s7, v3                                 // 000000002444: 7E0E0503
	s_waitcnt lgkmcnt(0)                                       // 000000002448: BF8CC07F
	s_and_b32 s29, s29, 0xffff                                 // 00000000244C: 861DFF1D 0000FFFF
	s_load_dwordx2 s[32:33], s[28:29], 0x0                     // 000000002454: C006080E 00000000
	s_load_dwordx2 s[30:31], s[28:29], 0x8                     // 00000000245C: C006078E 00000008
	s_waitcnt lgkmcnt(0)                                       // 000000002464: BF8CC07F
	s_mul_i32 s56, s2, 4                                       // 000000002468: 92388402
	s_and_b32 s33, s33, 0xffff                                 // 00000000246C: 8621FF21 0000FFFF
	s_add_u32 s32, s56, s32                                    // 000000002474: 80202038
	s_addc_u32 s33, 0, s33                                     // 000000002478: 82212180
	s_load_dword s85, s[32:33], 0x0                            // 00000000247C: C0021550 00000000
	s_load_dword s86, s[32:33], 0x4                            // 000000002484: C0021590 00000004
	s_and_b32 s31, s31, 0xffff                                 // 00000000248C: 861FFF1F 0000FFFF
	s_waitcnt lgkmcnt(0)                                       // 000000002494: BF8CC07F
	s_cmp_eq_i32 s85, s86                                      // 000000002498: BF005655
	s_cbranch_scc1 label_9C70                                  // 00000000249C: BF8526F4
	s_mul_i32 s56, s85, 32                                     // 0000000024A0: 9238A055

00000000000024a4 <label_00A4>:
	s_waitcnt vmcnt(0) expcnt(0) lgkmcnt(0)                    // 0000000024A4: BF8C0000
	s_barrier                                                  // 0000000024A8: BF8A0000
	s_add_u32 s30, s56, s30                                    // 0000000024AC: 801E1E38
	s_addc_u32 s31, 0, s31                                     // 0000000024B0: 821F1F80
	s_load_dword s87, s[30:31], 0x4                            // 0000000024B4: C00215CF 00000004
	s_load_dword s79, s[30:31], 0x8                            // 0000000024BC: C00213CF 00000008
	s_load_dword s78, s[30:31], 0xc                            // 0000000024C4: C002138F 0000000C
	s_load_dword s47, s[30:31], 0x10                           // 0000000024CC: C0020BCF 00000010
	s_load_dword s46, s[30:31], 0x14                           // 0000000024D4: C0020B8F 00000014
	s_load_dword s77, s[30:31], 0x18                           // 0000000024DC: C002134F 00000018
	s_load_dwordx2 s[8:9], s[0:1], 0x0                         // 0000000024E4: C0060200 00000000
	s_load_dwordx2 s[12:13], s[0:1], 0x10                      // 0000000024EC: C0060300 00000010
	s_load_dwordx2 s[16:17], s[0:1], 0x20                      // 0000000024F4: C0060400 00000020
	s_load_dwordx2 s[20:21], s[0:1], 0x30                      // 0000000024FC: C0060500 00000030
	s_load_dwordx2 s[24:25], s[0:1], 0x50                      // 000000002504: C0060600 00000050
	s_load_dword s64, s[0:1], 0x70                             // 00000000250C: C0021000 00000070
	s_load_dword s65, s[0:1], 0x80                             // 000000002514: C0021040 00000080
	s_load_dword s67, s[0:1], 0x90                             // 00000000251C: C00210C0 00000090
	s_load_dword s66, s[0:1], 0xa0                             // 000000002524: C0021080 000000A0
	s_load_dword s68, s[0:1], 0xb0                             // 00000000252C: C0021100 000000B0
	s_load_dword s69, s[0:1], 0xc0                             // 000000002534: C0021140 000000C0
	s_load_dwordx2 s[88:89], s[0:1], 0xf0                      // 00000000253C: C0061600 000000F0
	s_load_dwordx2 s[96:97], s[0:1], 0x130                     // 000000002544: C0061800 00000130
	s_load_dwordx2 s[40:41], s[0:1], 0x100                     // 00000000254C: C0060A00 00000100
	s_load_dwordx2 s[42:43], s[0:1], 0x110                     // 000000002554: C0060A80 00000110
	s_waitcnt lgkmcnt(0)                                       // 00000000255C: BF8CC07F
	s_sub_u32 s81, s78, s79                                    // 000000002560: 80D14F4E
	s_mul_i32 s74, 0x240, s65                                  // 000000002564: 924A41FF 00000240
	s_mul_i32 s56, 4, s65                                      // 00000000256C: 92384184
	s_mov_b32 s10, s75                                         // 000000002570: BE8A004B
	s_mov_b32 s18, s74                                         // 000000002574: BE92004A
	s_mov_b32 s14, s56                                         // 000000002578: BE8E0038
	s_mov_b32 s98, s56                                         // 00000000257C: BEE20038
	s_mov_b32 s22, -16                                         // 000000002580: BE9600D0
	s_mov_b32 s26, -16                                         // 000000002584: BE9A00D0
	s_mov_b32 s11, 0x20000                                     // 000000002588: BE8B00FF 00020000
	s_mov_b32 s91, 0x20000                                     // 000000002590: BEDB00FF 00020000
	s_mov_b32 s19, 0x20000                                     // 000000002598: BE9300FF 00020000
	s_mov_b32 s15, 0x20000                                     // 0000000025A0: BE8F00FF 00020000
	s_mov_b32 s99, 0x20000                                     // 0000000025A8: BEE300FF 00020000
	s_mov_b32 s23, 0x20000                                     // 0000000025B0: BE9700FF 00020000
	s_mov_b32 s27, 0x20000                                     // 0000000025B8: BE9B00FF 00020000
	s_and_b32 s9, s9, 0xffff                                   // 0000000025C0: 8609FF09 0000FFFF
	s_and_b32 s89, s89, 0xffff                                 // 0000000025C8: 8659FF59 0000FFFF
	s_and_b32 s17, s17, 0xffff                                 // 0000000025D0: 8611FF11 0000FFFF
	s_and_b32 s13, s13, 0xffff                                 // 0000000025D8: 860DFF0D 0000FFFF
	s_and_b32 s97, s97, 0xffff                                 // 0000000025E0: 8661FF61 0000FFFF
	s_and_b32 s21, s21, 0xffff                                 // 0000000025E8: 8615FF15 0000FFFF
	s_and_b32 s25, s25, 0xffff                                 // 0000000025F0: 8619FF19 0000FFFF
	s_and_b32 s41, s41, 0xffff                                 // 0000000025F8: 8629FF29 0000FFFF
	s_and_b32 s43, s43, 0xffff                                 // 000000002600: 862BFF2B 0000FFFF
	s_or_b32 s9, s9, 0x40000                                   // 000000002608: 8709FF09 00040000
	s_or_b32 s89, s89, 0x40000                                 // 000000002610: 8759FF59 00040000
	s_or_b32 s17, s17, 0x40000                                 // 000000002618: 8711FF11 00040000
	s_or_b32 s13, s13, 0x40000                                 // 000000002620: 870DFF0D 00040000
	s_or_b32 s97, s97, 0x40000                                 // 000000002628: 8761FF61 00040000
	s_or_b32 s21, s21, 0x40000                                 // 000000002630: 8715FF15 00040000
	s_or_b32 s25, s25, 0x40000                                 // 000000002638: 8719FF19 00040000
	s_mov_b32 s67, 1                                           // 000000002640: BEC30081
	s_mov_b32 s80, 0                                           // 000000002644: BED00080
	s_waitcnt lgkmcnt(0)                                       // 000000002648: BF8CC07F
	s_load_dword s60, s[40:41], 0x0                            // 00000000264C: C0020F14 00000000
	s_load_dword s61, s[42:43], 0x0                            // 000000002654: C0020F55 00000000
	s_mov_b32 s69, 0                                           // 00000000265C: BEC50080
	s_lshr_b32 s44, 64, s69                                    // 000000002660: 8F2C45C0
	s_mul_i32 s73, s44, 4                                      // 000000002664: 9249842C
	s_mul_i32 s73, s73, s67                                    // 000000002668: 92494349
	s_mul_i32 s45, s4, s44                                     // 00000000266C: 922D2C04
	s_sub_u32 s50, s46, s47                                    // 000000002670: 80B22F2E
	s_cmp_le_u32 s50, s45                                      // 000000002674: BF0B2D32
	s_cbranch_scc1 label_9C70                                  // 000000002678: BF85267D
	s_mul_i32 s56, s50, 4                                      // 00000000267C: 92388432
	s_mov_b32 s26, s56                                         // 000000002680: BE9A0038
	s_mul_i32 s56, s47, 4                                      // 000000002684: 9238842F
	s_add_u32 s24, s56, s24                                    // 000000002688: 80181838
	s_addc_u32 s25, 0, s25                                     // 00000000268C: 82191980
	s_mov_b32 s70, 0                                           // 000000002690: BEC60080
	s_sub_u32 s71, s50, s45                                    // 000000002694: 80C72D32
	s_mul_i32 s37, s67, s44                                    // 000000002698: 92252C43
	s_mov_b32 s36, s71                                         // 00000000269C: BEA40047
	v_cvt_f32_u32_e32 v35, s37                                 // 0000000026A0: 7E460C25
	s_sub_i32 s56, 0, s37                                      // 0000000026A4: 81B82580
	v_rcp_iflag_f32_e32 v35, v35                               // 0000000026A8: 7E464723
	s_nop 0                                                    // 0000000026AC: BF800000
	v_mul_f32_e32 v35, 0x4f7ffffe, v35                         // 0000000026B0: 0A4646FF 4F7FFFFE
	v_cvt_u32_f32_e32 v35, v35                                 // 0000000026B8: 7E460F23
	v_mul_lo_u32 v36, s56, v35                                 // 0000000026BC: D2850024 00024638
	v_mul_hi_u32 v36, v35, v36                                 // 0000000026C4: D2860024 00024923
	v_add_u32_e32 v35, v35, v36                                // 0000000026CC: 68464923
	v_mul_hi_u32 v35, s36, v35                                 // 0000000026D0: D2860023 00024624
	v_mul_lo_u32 v36, v35, s37                                 // 0000000026D8: D2850024 00004B23
	v_sub_u32_e32 v38, s36, v36                                // 0000000026E0: 6A4C4824
	v_add_u32_e32 v37, 1, v35                                  // 0000000026E4: 684A4681
	v_cmp_le_u32_e32 vcc, s37, v38                             // 0000000026E8: 7D964C25
	v_subrev_u32_e32 v36, s37, v38                             // 0000000026EC: 6C484C25
	s_nop 0                                                    // 0000000026F0: BF800000
	v_cndmask_b32_e32 v35, v35, v37, vcc                       // 0000000026F4: 00464B23
	v_cndmask_b32_e32 v38, v38, v36, vcc                       // 0000000026F8: 004C4926
	v_add_u32_e32 v36, 1, v35                                  // 0000000026FC: 68484681
	v_cmp_le_u32_e32 vcc, s37, v38                             // 000000002700: 7D964C25
	s_nop 1                                                    // 000000002704: BF800001
	v_cndmask_b32_e32 v38, v35, v36, vcc                       // 000000002708: 004C4923
	s_nop 3                                                    // 00000000270C: BF800003
	v_readfirstlane_b32 s38, v38                               // 000000002710: 7E4C0526
	s_nop 3                                                    // 000000002714: BF800003
	s_mov_b32 s71, s38                                         // 000000002718: BEC70026
	s_mul_i32 s56, s71, s37                                    // 00000000271C: 92382547
	s_sub_u32 s56, s36, s56                                    // 000000002720: 80B83824
	s_mov_b32 s57, 0                                           // 000000002724: BEB90080
	s_cmp_lt_u32 s56, s44                                      // 000000002728: BF0A2C38
	s_cselect_b32 s57, s57, 1                                  // 00000000272C: 85398139
	s_add_u32 s71, s57, s71                                    // 000000002730: 80474739
	s_cmpk_eq_u32 s57, 0x1                                     // 000000002734: B4390001
	s_cselect_b32 s49, 0, s56                                  // 000000002738: 85313880
	s_mov_b32 s48, s49                                         // 00000000273C: BEB00031
	v_lshrrev_b32_e32 v35, 2, v0                               // 000000002740: 20460082
	s_mul_i32 s56, s7, 16                                      // 000000002744: 92389007
	v_add_u32_e64 v34, v35, s56                                // 000000002748: D1340022 00007123
	v_add_u32_e32 v34, s45, v34                                // 000000002750: 6844442D
	v_lshlrev_b32_e32 v34, 2, v34                              // 000000002754: 24444482
	buffer_load_dword v30, v34, s[24:27], 0 offen              // 000000002758: E0501000 80061E22
	v_add_u32_e32 v34, s73, v34                                // 000000002760: 68444449
	buffer_load_dword v31, v34, s[24:27], 0 offen              // 000000002764: E0501000 80061F22
	v_add_u32_e32 v34, s73, v34                                // 00000000276C: 68444449
	s_mul_i32 s56, s79, s74                                    // 000000002770: 92384A4F
	s_add_u32 s16, s56, s16                                    // 000000002774: 80101038
	s_addc_u32 s17, 0, s17                                     // 000000002778: 82111180
	s_mul_i32 s56, s7, 0x400                                   // 00000000277C: 9238FF07 00000400
	s_add_u32 m0, 0x2000, s56                                  // 000000002784: 807C38FF 00002000
	v_and_b32_e32 v35, 3, v0                                   // 00000000278C: 26460083
	v_mov_b32_e32 v36, 0                                       // 000000002790: 7E480280
	s_mov_b32 s56, 0                                           // 000000002794: BEB80080
	s_mov_b32 s57, -1                                          // 000000002798: BEB900C1
	v_cndmask_b32_e64 v37, v36, v35, s[56:57]                  // 00000000279C: D1000025 00E24724
	s_nop 2                                                    // 0000000027A4: BF800002
	v_mov_b32_dpp v37, v37 quad_perm:[2,3,0,1] row_mask:0xf bank_mask:0xf// 0000000027A8: 7E4A02FA FF004E25
	v_cndmask_b32_e64 v38, v35, v37, s[56:57]                  // 0000000027B0: D1000026 00E24B23
	v_lshlrev_b32_e32 v38, 4, v38                              // 0000000027B8: 244C4C84
	v_mov_b32_e32 v1, v38                                      // 0000000027BC: 7E020326
	v_lshrrev_b32_e32 v35, 2, v0                               // 0000000027C0: 20460082
	s_mov_b32 s56, 0x240                                       // 0000000027C4: BEB800FF 00000240
	v_mul_i32_i24_e64 v35, v35, s56                            // 0000000027CC: D1060023 00007123
	s_mul_i32 s56, s7, 64                                      // 0000000027D4: 9238C007
	v_add_u32_e32 v36, v35, v38                                // 0000000027D8: 68484D23
	v_add_u32_e64 v36, v36, s56                                // 0000000027DC: D1340024 00007124
	buffer_load_dwordx4 v36, s[16:19], 0 offen lds             // 0000000027E4: E05D1000 80040024
	s_add_u32 m0, m0, 0x1000                                   // 0000000027EC: 807CFF7C 00001000
	v_add_u32_e32 v36, 0x100, v36                              // 0000000027F4: 684848FF 00000100
	buffer_load_dwordx4 v36, s[16:19], 0 offen lds             // 0000000027FC: E05D1000 80040024
	s_add_u32 m0, m0, 0x1000                                   // 000000002804: 807CFF7C 00001000
	v_add_u32_e32 v36, 0x100, v36                              // 00000000280C: 684848FF 00000100
	buffer_load_dwordx4 v36, s[16:19], 0 offen lds             // 000000002814: E05D1000 80040024
	s_add_u32 m0, m0, 0x1000                                   // 00000000281C: 807CFF7C 00001000
	v_add_u32_e32 v36, 0x100, v36                              // 000000002824: 684848FF 00000100
	v_add_u32_e32 v36, 0x2100, v36                             // 00000000282C: 684848FF 00002100
	buffer_load_dwordx4 v36, s[16:19], 0 offen lds             // 000000002834: E05D1000 80040024
	s_add_u32 m0, m0, 0x1000                                   // 00000000283C: 807CFF7C 00001000
	v_add_u32_e32 v36, 0x100, v36                              // 000000002844: 684848FF 00000100
	buffer_load_dwordx4 v36, s[16:19], 0 offen lds             // 00000000284C: E05D1000 80040024
	s_add_u32 m0, m0, 0x1000                                   // 000000002854: 807CFF7C 00001000
	v_add_u32_e32 v36, 0x100, v36                              // 00000000285C: 684848FF 00000100
	buffer_load_dwordx4 v36, s[16:19], 0 offen lds             // 000000002864: E05D1000 80040024
	s_add_u32 m0, m0, 0x1000                                   // 00000000286C: 807CFF7C 00001000
	v_add_u32_e32 v36, 0x100, v36                              // 000000002874: 684848FF 00000100
	v_add_u32_e32 v36, 0x2100, v36                             // 00000000287C: 684848FF 00002100
	buffer_load_dwordx4 v36, s[16:19], 0 offen lds             // 000000002884: E05D1000 80040024
	s_add_u32 m0, m0, 0x1000                                   // 00000000288C: 807CFF7C 00001000
	v_add_u32_e32 v36, 0x100, v36                              // 000000002894: 684848FF 00000100
	buffer_load_dwordx4 v36, s[16:19], 0 offen lds             // 00000000289C: E05D1000 80040024
	s_add_u32 m0, m0, 0x1000                                   // 0000000028A4: 807CFF7C 00001000
	v_add_u32_e32 v36, 0x100, v36                              // 0000000028AC: 684848FF 00000100
	buffer_load_dwordx4 v36, s[16:19], 0 offen lds             // 0000000028B4: E05D1000 80040024
	s_add_u32 m0, m0, 0x1000                                   // 0000000028BC: 807CFF7C 00001000
	v_add_u32_e32 v36, 0x100, v36                              // 0000000028C4: 684848FF 00000100
	v_add_u32_e32 v36, 0x2100, v36                             // 0000000028CC: 684848FF 00002100
	buffer_load_dwordx4 v36, s[16:19], 0 offen lds             // 0000000028D4: E05D1000 80040024
	s_add_u32 m0, m0, 0x1000                                   // 0000000028DC: 807CFF7C 00001000
	v_add_u32_e32 v36, 0x100, v36                              // 0000000028E4: 684848FF 00000100
	buffer_load_dwordx4 v36, s[16:19], 0 offen lds             // 0000000028EC: E05D1000 80040024
	s_add_u32 m0, m0, 0x1000                                   // 0000000028F4: 807CFF7C 00001000
	v_add_u32_e32 v36, 0x100, v36                              // 0000000028FC: 684848FF 00000100
	buffer_load_dwordx4 v36, s[16:19], 0 offen lds             // 000000002904: E05D1000 80040024
	s_add_u32 m0, m0, 0x1000                                   // 00000000290C: 807CFF7C 00001000
	v_add_u32_e32 v36, 0x100, v36                              // 000000002914: 684848FF 00000100
	v_add_u32_e32 v36, 0x2100, v36                             // 00000000291C: 684848FF 00002100
	s_mov_b32 s52, 0x7060302                                   // 000000002924: BEB400FF 07060302
	s_mov_b32 s53, 0x5040100                                   // 00000000292C: BEB500FF 05040100
	s_mul_i32 s51, s7, 4                                       // 000000002934: 92338407
	s_mov_b32 s6, 0x3fb8aa3b                                   // 000000002938: BE8600FF 3FB8AA3B
	v_mov_b32_e32 v36, s6                                      // 000000002940: 7E480206
	v_mov_b32_e32 v35, s64                                     // 000000002944: 7E460240
	v_mul_f32_e32 v35, s6, v35                                 // 000000002948: 0A464606
	v_rcp_f32_e32 v36, v36                                     // 00000000294C: 7E484524
	v_mov_b32_e32 v2, 0xff800000                               // 000000002950: 7E0402FF FF800000
	v_mov_b32_e32 v21, 0                                       // 000000002958: 7E2A0280
	v_mov_b32_e32 v4, 0                                        // 00000000295C: 7E080280
	v_readfirstlane_b32 s5, v35                                // 000000002960: 7E0A0523
	v_readfirstlane_b32 s63, v36                               // 000000002964: 7E7E0524
	s_waitcnt lgkmcnt(0)                                       // 000000002968: BF8CC07F
	v_mov_b32_e32 v35, s60                                     // 00000000296C: 7E46023C
	v_mul_f32_e32 v35, s61, v35                                // 000000002970: 0A46463D
	v_mul_f32_e32 v36, s5, v35                                 // 000000002974: 0A484605
	v_mul_f32_e32 v38, s64, v35                                // 000000002978: 0A4C4640
	v_readfirstlane_b32 s5, v36                                // 00000000297C: 7E0A0524
	v_readfirstlane_b32 s64, v38                               // 000000002980: 7E800526
	v_and_b32_e32 v35, 15, v0                                  // 000000002984: 2646008F
	v_lshlrev_b32_e32 v35, 4, v35                              // 000000002988: 24464684
	v_and_b32_e32 v36, 31, v0                                  // 00000000298C: 2648009F
	v_lshrrev_b32_e32 v36, 4, v36                              // 000000002990: 20484884
	s_mov_b32 s56, 0xc00                                       // 000000002994: BEB800FF 00000C00
	v_mul_i32_i24_e32 v36, s56, v36                            // 00000000299C: 0C484838
	v_add_u32_e32 v222, v35, v36                               // 0000000029A0: 69BC4923
	v_mov_b32_e32 v223, v222                                   // 0000000029A4: 7FBE03DE
	v_and_b32_e32 v35, 15, v0                                  // 0000000029A8: 2646008F
	v_lshrrev_b32_e32 v35, 3, v35                              // 0000000029AC: 20464683
	v_lshlrev_b32_e32 v35, 3, v35                              // 0000000029B0: 24464683
	v_lshrrev_b32_e32 v36, 5, v0                               // 0000000029B4: 20480085
	v_lshlrev_b32_e32 v36, 2, v36                              // 0000000029B8: 24484882
	v_add_u32_e32 v222, v222, v35                              // 0000000029BC: 69BC47DE
	v_add_u32_e32 v222, v222, v36                              // 0000000029C0: 69BC49DE
	v_and_b32_e32 v35, 15, v0                                  // 0000000029C4: 2646008F
	v_lshrrev_b32_e32 v35, 3, v35                              // 0000000029C8: 20464683
	s_mov_b32 s56, 1                                           // 0000000029CC: BEB80081
	v_mov_b32_e32 v36, s56                                     // 0000000029D0: 7E480238
	v_xor_b32_e32 v35, v36, v35                                // 0000000029D4: 2A464724
	v_lshlrev_b32_e32 v35, 3, v35                              // 0000000029D8: 24464683
	v_lshrrev_b32_e32 v36, 5, v0                               // 0000000029DC: 20480085
	v_lshlrev_b32_e32 v36, 2, v36                              // 0000000029E0: 24484882
	v_add_u32_e32 v223, v223, v35                              // 0000000029E4: 69BE47DF
	v_add_u32_e32 v223, v223, v36                              // 0000000029E8: 69BE49DF
	s_mov_b32 s56, 0                                           // 0000000029EC: BEB80080
	v_lshlrev_b32_e32 v222, 2, v222                            // 0000000029F0: 25BDBC82
	v_lshlrev_b32_e32 v223, 2, v223                            // 0000000029F4: 25BFBE82
	s_lshr_b32 s57, s7, 1                                      // 0000000029F8: 8F398107
	s_mul_i32 s56, s57, 0x6000                                 // 0000000029FC: 9238FF39 00006000
	v_add_u32_e32 v222, s56, v222                              // 000000002A04: 69BDBC38
	v_add_u32_e32 v223, s56, v223                              // 000000002A08: 69BFBE38
	s_waitcnt vmcnt(0)                                         // 000000002A0C: BF8C0F70
	s_barrier                                                  // 000000002A10: BF8A0000
	ds_read_b128 a[0:3], v222 offset:8192                      // 000000002A14: DBFE2000 000000DE
	ds_read_b128 a[8:11], v222 offset:9216                     // 000000002A1C: DBFE2400 080000DE
	ds_read_b128 a[16:19], v222 offset:10240                   // 000000002A24: DBFE2800 100000DE
	ds_read_b128 a[24:27], v222 offset:11264                   // 000000002A2C: DBFE2C00 180000DE
	ds_read_b128 a[32:35], v222 offset:12288                   // 000000002A34: DBFE3000 200000DE
	ds_read_b128 a[40:43], v222 offset:13312                   // 000000002A3C: DBFE3400 280000DE
	ds_read_b128 a[48:51], v222 offset:14336                   // 000000002A44: DBFE3800 300000DE
	ds_read_b128 a[56:59], v222 offset:15360                   // 000000002A4C: DBFE3C00 380000DE
	ds_read_b128 a[64:67], v222 offset:16384                   // 000000002A54: DBFE4000 400000DE
	ds_read_b128 a[4:7], v223 offset:8192                      // 000000002A5C: DBFE2000 040000DF
	ds_read_b128 a[12:15], v223 offset:9216                    // 000000002A64: DBFE2400 0C0000DF
	ds_read_b128 a[20:23], v223 offset:10240                   // 000000002A6C: DBFE2800 140000DF
	ds_read_b128 a[28:31], v223 offset:11264                   // 000000002A74: DBFE2C00 1C0000DF
	ds_read_b128 a[36:39], v223 offset:12288                   // 000000002A7C: DBFE3000 240000DF
	ds_read_b128 a[44:47], v223 offset:13312                   // 000000002A84: DBFE3400 2C0000DF
	ds_read_b128 a[52:55], v223 offset:14336                   // 000000002A8C: DBFE3800 340000DF
	ds_read_b128 a[60:63], v223 offset:15360                   // 000000002A94: DBFE3C00 3C0000DF
	ds_read_b128 a[68:71], v223 offset:16384                   // 000000002A9C: DBFE4000 440000DF
	v_lshlrev_b32_e32 v35, 2, v0                               // 000000002AA4: 24460082
	s_mov_b32 s56, 0x200                                       // 000000002AA8: BEB800FF 00000200
	s_lshr_b32 s57, s7, 1                                      // 000000002AB0: 8F398107
	s_mul_i32 s56, s57, s56                                    // 000000002AB4: 92383839
	v_add_u32_e32 v40, s56, v35                                // 000000002AB8: 68504638
	v_lshlrev_b32_e32 v35, 2, v0                               // 000000002ABC: 24460082
	s_mov_b32 s56, 0x100                                       // 000000002AC0: BEB800FF 00000100
	s_mul_i32 s56, s7, s56                                     // 000000002AC8: 92383807
	v_add_u32_e32 v41, s56, v35                                // 000000002ACC: 68524638
	v_lshlrev_b32_e32 v35, 4, v0                               // 000000002AD0: 24460084
	s_mov_b32 s56, 0x800                                       // 000000002AD4: BEB800FF 00000800
	s_lshr_b32 s57, s7, 1                                      // 000000002ADC: 8F398107
	s_mul_i32 s56, s57, s56                                    // 000000002AE0: 92383839
	v_add_u32_e32 v42, s56, v35                                // 000000002AE4: 68544638
	v_lshlrev_b32_e32 v35, 4, v0                               // 000000002AE8: 24460084
	s_mov_b32 s56, 0x400                                       // 000000002AEC: BEB800FF 00000400
	s_mul_i32 s56, s7, s56                                     // 000000002AF4: 92383807
	v_add_u32_e32 v43, s56, v35                                // 000000002AF8: 68564638
	v_mov_b32_e32 v76, 0                                       // 000000002AFC: 7E980280
	v_mov_b32_e32 v77, 0                                       // 000000002B00: 7E9A0280
	v_mov_b32_e32 v78, 0                                       // 000000002B04: 7E9C0280
	v_mov_b32_e32 v79, 0                                       // 000000002B08: 7E9E0280
	v_mov_b32_e32 v80, 0                                       // 000000002B0C: 7EA00280
	v_mov_b32_e32 v81, 0                                       // 000000002B10: 7EA20280
	v_mov_b32_e32 v82, 0                                       // 000000002B14: 7EA40280
	v_mov_b32_e32 v83, 0                                       // 000000002B18: 7EA60280
	v_mov_b32_e32 v84, 0                                       // 000000002B1C: 7EA80280
	v_mov_b32_e32 v85, 0                                       // 000000002B20: 7EAA0280
	v_mov_b32_e32 v86, 0                                       // 000000002B24: 7EAC0280
	v_mov_b32_e32 v87, 0                                       // 000000002B28: 7EAE0280
	v_mov_b32_e32 v88, 0                                       // 000000002B2C: 7EB00280
	v_mov_b32_e32 v89, 0                                       // 000000002B30: 7EB20280
	v_mov_b32_e32 v90, 0                                       // 000000002B34: 7EB40280
	v_mov_b32_e32 v91, 0                                       // 000000002B38: 7EB60280
	v_mov_b32_e32 v92, 0                                       // 000000002B3C: 7EB80280
	v_mov_b32_e32 v93, 0                                       // 000000002B40: 7EBA0280
	v_mov_b32_e32 v94, 0                                       // 000000002B44: 7EBC0280
	v_mov_b32_e32 v95, 0                                       // 000000002B48: 7EBE0280
	v_mov_b32_e32 v96, 0                                       // 000000002B4C: 7EC00280
	v_mov_b32_e32 v97, 0                                       // 000000002B50: 7EC20280
	v_mov_b32_e32 v98, 0                                       // 000000002B54: 7EC40280
	v_mov_b32_e32 v99, 0                                       // 000000002B58: 7EC60280
	v_mov_b32_e32 v100, 0                                      // 000000002B5C: 7EC80280
	v_mov_b32_e32 v101, 0                                      // 000000002B60: 7ECA0280
	v_mov_b32_e32 v102, 0                                      // 000000002B64: 7ECC0280
	v_mov_b32_e32 v103, 0                                      // 000000002B68: 7ECE0280
	v_mov_b32_e32 v104, 0                                      // 000000002B6C: 7ED00280
	v_mov_b32_e32 v105, 0                                      // 000000002B70: 7ED20280
	v_mov_b32_e32 v106, 0                                      // 000000002B74: 7ED40280
	v_mov_b32_e32 v107, 0                                      // 000000002B78: 7ED60280
	v_mov_b32_e32 v108, 0                                      // 000000002B7C: 7ED80280
	v_mov_b32_e32 v109, 0                                      // 000000002B80: 7EDA0280
	v_mov_b32_e32 v110, 0                                      // 000000002B84: 7EDC0280
	v_mov_b32_e32 v111, 0                                      // 000000002B88: 7EDE0280
	v_mov_b32_e32 v112, 0                                      // 000000002B8C: 7EE00280
	v_mov_b32_e32 v113, 0                                      // 000000002B90: 7EE20280
	v_mov_b32_e32 v114, 0                                      // 000000002B94: 7EE40280
	v_mov_b32_e32 v115, 0                                      // 000000002B98: 7EE60280
	v_mov_b32_e32 v116, 0                                      // 000000002B9C: 7EE80280
	v_mov_b32_e32 v117, 0                                      // 000000002BA0: 7EEA0280
	v_mov_b32_e32 v118, 0                                      // 000000002BA4: 7EEC0280
	v_mov_b32_e32 v119, 0                                      // 000000002BA8: 7EEE0280
	v_mov_b32_e32 v120, 0                                      // 000000002BAC: 7EF00280
	v_mov_b32_e32 v121, 0                                      // 000000002BB0: 7EF20280
	v_mov_b32_e32 v122, 0                                      // 000000002BB4: 7EF40280
	v_mov_b32_e32 v123, 0                                      // 000000002BB8: 7EF60280
	v_mov_b32_e32 v124, 0                                      // 000000002BBC: 7EF80280
	v_mov_b32_e32 v125, 0                                      // 000000002BC0: 7EFA0280
	v_mov_b32_e32 v126, 0                                      // 000000002BC4: 7EFC0280
	v_mov_b32_e32 v127, 0                                      // 000000002BC8: 7EFE0280
	v_mov_b32_e32 v128, 0                                      // 000000002BCC: 7F000280
	v_mov_b32_e32 v129, 0                                      // 000000002BD0: 7F020280
	v_mov_b32_e32 v130, 0                                      // 000000002BD4: 7F040280
	v_mov_b32_e32 v131, 0                                      // 000000002BD8: 7F060280
	v_mov_b32_e32 v132, 0                                      // 000000002BDC: 7F080280
	v_mov_b32_e32 v133, 0                                      // 000000002BE0: 7F0A0280
	v_mov_b32_e32 v134, 0                                      // 000000002BE4: 7F0C0280
	v_mov_b32_e32 v135, 0                                      // 000000002BE8: 7F0E0280
	v_mov_b32_e32 v136, 0                                      // 000000002BEC: 7F100280
	v_mov_b32_e32 v137, 0                                      // 000000002BF0: 7F120280
	v_mov_b32_e32 v138, 0                                      // 000000002BF4: 7F140280
	v_mov_b32_e32 v139, 0                                      // 000000002BF8: 7F160280
	v_mov_b32_e32 v140, 0                                      // 000000002BFC: 7F180280
	v_mov_b32_e32 v141, 0                                      // 000000002C00: 7F1A0280
	v_mov_b32_e32 v142, 0                                      // 000000002C04: 7F1C0280
	v_mov_b32_e32 v143, 0                                      // 000000002C08: 7F1E0280
	v_mov_b32_e32 v144, 0                                      // 000000002C0C: 7F200280
	v_mov_b32_e32 v145, 0                                      // 000000002C10: 7F220280
	v_mov_b32_e32 v146, 0                                      // 000000002C14: 7F240280
	v_mov_b32_e32 v147, 0                                      // 000000002C18: 7F260280
	v_mov_b32_e32 v148, 0                                      // 000000002C1C: 7F280280
	v_mov_b32_e32 v149, 0                                      // 000000002C20: 7F2A0280
	v_mov_b32_e32 v150, 0                                      // 000000002C24: 7F2C0280
	v_mov_b32_e32 v151, 0                                      // 000000002C28: 7F2E0280
	v_mov_b32_e32 v152, 0                                      // 000000002C2C: 7F300280
	v_mov_b32_e32 v153, 0                                      // 000000002C30: 7F320280
	v_mov_b32_e32 v154, 0                                      // 000000002C34: 7F340280
	v_mov_b32_e32 v155, 0                                      // 000000002C38: 7F360280
	v_mov_b32_e32 v156, 0                                      // 000000002C3C: 7F380280
	v_mov_b32_e32 v157, 0                                      // 000000002C40: 7F3A0280
	v_mov_b32_e32 v158, 0                                      // 000000002C44: 7F3C0280
	v_mov_b32_e32 v159, 0                                      // 000000002C48: 7F3E0280
	v_mov_b32_e32 v160, 0                                      // 000000002C4C: 7F400280
	v_mov_b32_e32 v161, 0                                      // 000000002C50: 7F420280
	v_mov_b32_e32 v162, 0                                      // 000000002C54: 7F440280
	v_mov_b32_e32 v163, 0                                      // 000000002C58: 7F460280
	v_mov_b32_e32 v164, 0                                      // 000000002C5C: 7F480280
	v_mov_b32_e32 v165, 0                                      // 000000002C60: 7F4A0280
	v_mov_b32_e32 v166, 0                                      // 000000002C64: 7F4C0280
	v_mov_b32_e32 v167, 0                                      // 000000002C68: 7F4E0280
	v_mov_b32_e32 v168, 0                                      // 000000002C6C: 7F500280
	v_mov_b32_e32 v169, 0                                      // 000000002C70: 7F520280
	v_mov_b32_e32 v170, 0                                      // 000000002C74: 7F540280
	v_mov_b32_e32 v171, 0                                      // 000000002C78: 7F560280
	v_mov_b32_e32 v172, 0                                      // 000000002C7C: 7F580280
	v_mov_b32_e32 v173, 0                                      // 000000002C80: 7F5A0280
	v_mov_b32_e32 v174, 0                                      // 000000002C84: 7F5C0280
	v_mov_b32_e32 v175, 0                                      // 000000002C88: 7F5E0280
	v_mov_b32_e32 v176, 0                                      // 000000002C8C: 7F600280
	v_mov_b32_e32 v177, 0                                      // 000000002C90: 7F620280
	v_mov_b32_e32 v178, 0                                      // 000000002C94: 7F640280
	v_mov_b32_e32 v179, 0                                      // 000000002C98: 7F660280
	v_mov_b32_e32 v180, 0                                      // 000000002C9C: 7F680280
	v_mov_b32_e32 v181, 0                                      // 000000002CA0: 7F6A0280
	v_mov_b32_e32 v182, 0                                      // 000000002CA4: 7F6C0280
	v_mov_b32_e32 v183, 0                                      // 000000002CA8: 7F6E0280
	v_mov_b32_e32 v184, 0                                      // 000000002CAC: 7F700280
	v_mov_b32_e32 v185, 0                                      // 000000002CB0: 7F720280
	v_mov_b32_e32 v186, 0                                      // 000000002CB4: 7F740280
	v_mov_b32_e32 v187, 0                                      // 000000002CB8: 7F760280
	v_mov_b32_e32 v188, 0                                      // 000000002CBC: 7F780280
	v_mov_b32_e32 v189, 0                                      // 000000002CC0: 7F7A0280
	v_mov_b32_e32 v190, 0                                      // 000000002CC4: 7F7C0280
	v_mov_b32_e32 v191, 0                                      // 000000002CC8: 7F7E0280
	v_mov_b32_e32 v192, 0                                      // 000000002CCC: 7F800280
	v_mov_b32_e32 v193, 0                                      // 000000002CD0: 7F820280
	v_mov_b32_e32 v194, 0                                      // 000000002CD4: 7F840280
	v_mov_b32_e32 v195, 0                                      // 000000002CD8: 7F860280
	v_mov_b32_e32 v196, 0                                      // 000000002CDC: 7F880280
	v_mov_b32_e32 v197, 0                                      // 000000002CE0: 7F8A0280
	v_mov_b32_e32 v198, 0                                      // 000000002CE4: 7F8C0280
	v_mov_b32_e32 v199, 0                                      // 000000002CE8: 7F8E0280
	v_mov_b32_e32 v200, 0                                      // 000000002CEC: 7F900280
	v_mov_b32_e32 v201, 0                                      // 000000002CF0: 7F920280
	v_mov_b32_e32 v202, 0                                      // 000000002CF4: 7F940280
	v_mov_b32_e32 v203, 0                                      // 000000002CF8: 7F960280
	s_waitcnt lgkmcnt(0)                                       // 000000002CFC: BF8CC07F
	v_mul_u32_u24_e64 v217, v30, s68                           // 000000002D00: D10800D9 0000891E
	v_add_u32_e32 v217, v217, v1                               // 000000002D08: 69B203D9
	s_mov_b32 s56, 0xb000                                      // 000000002D0C: BEB800FF 0000B000
	s_mul_i32 s57, s7, 0x2400                                  // 000000002D14: 9239FF07 00002400
	s_add_u32 m0, s56, s57                                     // 000000002D1C: 807C3938
	buffer_load_dwordx4 v217, s[20:23], 0 offen lds            // 000000002D20: E05D1000 800500D9
	s_add_i32 m0, m0, 0x3c0                                    // 000000002D28: 817CFF7C 000003C0
	buffer_load_dwordx4 v217, s[20:23], 0 offen offset:64 lds  // 000000002D30: E05D1040 800500D9
	s_add_i32 m0, m0, 0x3c0                                    // 000000002D38: 817CFF7C 000003C0
	buffer_load_dwordx4 v217, s[20:23], 0 offen offset:128 lds // 000000002D40: E05D1080 800500D9
	s_add_i32 m0, m0, 0x3c0                                    // 000000002D48: 817CFF7C 000003C0
	buffer_load_dwordx4 v217, s[20:23], 0 offen offset:192 lds // 000000002D50: E05D10C0 800500D9
	s_add_i32 m0, m0, 0x3c0                                    // 000000002D58: 817CFF7C 000003C0
	buffer_load_dwordx4 v217, s[20:23], 0 offen offset:256 lds // 000000002D60: E05D1100 800500D9
	s_add_i32 m0, m0, 0x3c0                                    // 000000002D68: 817CFF7C 000003C0
	buffer_load_dwordx4 v217, s[20:23], 0 offen offset:320 lds // 000000002D70: E05D1140 800500D9
	s_add_i32 m0, m0, 0x3c0                                    // 000000002D78: 817CFF7C 000003C0
	buffer_load_dwordx4 v217, s[20:23], 0 offen offset:384 lds // 000000002D80: E05D1180 800500D9
	s_add_i32 m0, m0, 0x3c0                                    // 000000002D88: 817CFF7C 000003C0
	buffer_load_dwordx4 v217, s[20:23], 0 offen offset:448 lds // 000000002D90: E05D11C0 800500D9
	s_add_i32 m0, m0, 0x3c0                                    // 000000002D98: 817CFF7C 000003C0
	buffer_load_dwordx4 v217, s[20:23], 0 offen offset:512 lds // 000000002DA0: E05D1200 800500D9
	s_add_i32 m0, m0, 0x3c0                                    // 000000002DA8: 817CFF7C 000003C0
	buffer_load_dword v32, v34, s[24:27], 0 offen              // 000000002DB0: E0501000 80062022
	v_add_u32_e32 v34, s73, v34                                // 000000002DB8: 68444449
	v_and_b32_e32 v35, 15, v0                                  // 000000002DBC: 2646008F
	v_lshlrev_b32_e32 v35, 4, v35                              // 000000002DC0: 24464684
	v_and_b32_e32 v36, 31, v0                                  // 000000002DC4: 2648009F
	v_lshrrev_b32_e32 v36, 4, v36                              // 000000002DC8: 20484884
	s_mov_b32 s56, 0x900                                       // 000000002DCC: BEB800FF 00000900
	v_mul_i32_i24_e32 v36, s56, v36                            // 000000002DD4: 0C484838
	v_add_u32_e32 v22, v35, v36                                // 000000002DD8: 682C4923
	v_mov_b32_e32 v23, v22                                     // 000000002DDC: 7E2E0316
	v_and_b32_e32 v35, 15, v0                                  // 000000002DE0: 2646008F
	v_lshrrev_b32_e32 v35, 3, v35                              // 000000002DE4: 20464683
	v_lshlrev_b32_e32 v35, 3, v35                              // 000000002DE8: 24464683
	v_lshrrev_b32_e32 v36, 5, v0                               // 000000002DEC: 20480085
	v_lshlrev_b32_e32 v36, 2, v36                              // 000000002DF0: 24484882
	v_add_u32_e32 v22, v22, v35                                // 000000002DF4: 682C4716
	v_add_u32_e32 v22, v22, v36                                // 000000002DF8: 682C4916
	v_and_b32_e32 v35, 15, v0                                  // 000000002DFC: 2646008F
	v_lshrrev_b32_e32 v35, 3, v35                              // 000000002E00: 20464683
	s_mov_b32 s56, 1                                           // 000000002E04: BEB80081
	v_mov_b32_e32 v36, s56                                     // 000000002E08: 7E480238
	v_xor_b32_e32 v35, v36, v35                                // 000000002E0C: 2A464724
	v_lshlrev_b32_e32 v35, 3, v35                              // 000000002E10: 24464683
	v_lshrrev_b32_e32 v36, 5, v0                               // 000000002E14: 20480085
	v_lshlrev_b32_e32 v36, 2, v36                              // 000000002E18: 24484882
	v_add_u32_e32 v23, v23, v35                                // 000000002E1C: 682E4717
	v_add_u32_e32 v23, v23, v36                                // 000000002E20: 682E4917
	s_mov_b32 s56, 0                                           // 000000002E24: BEB80080
	v_lshlrev_b32_e32 v22, 2, v22                              // 000000002E28: 242C2C82
	v_lshlrev_b32_e32 v23, 2, v23                              // 000000002E2C: 242E2E82
	s_and_b32 s56, s7, 1                                       // 000000002E30: 86388107
	s_mov_b32 s57, 0x4800                                      // 000000002E34: BEB900FF 00004800
	s_mul_i32 s56, s57, s56                                    // 000000002E3C: 92383839
	v_add_u32_e32 v22, s56, v22                                // 000000002E40: 682C2C38
	v_add_u32_e32 v23, s56, v23                                // 000000002E44: 682E2E38
	s_mov_b32 s56, 0x2000                                      // 000000002E48: BEB800FF 00002000
	v_add_u32_e32 v22, s56, v22                                // 000000002E50: 682C2C38
	v_add_u32_e32 v23, s56, v23                                // 000000002E54: 682E2E38
	s_mov_b32 s57, 0x9000                                      // 000000002E58: BEB900FF 00009000
	v_add_u32_e32 v24, s57, v22                                // 000000002E60: 68302C39
	v_add_u32_e32 v25, s57, v23                                // 000000002E64: 68322E39
	v_add_u32_e32 v26, s57, v24                                // 000000002E68: 68343039
	v_add_u32_e32 v27, s57, v25                                // 000000002E6C: 68363239
	v_add_u32_e32 v28, s57, v26                                // 000000002E70: 68383439
	v_add_u32_e32 v29, s57, v27                                // 000000002E74: 683A3639
	v_and_b32_e32 v35, 15, v0                                  // 000000002E78: 2646008F
	v_lshrrev_b32_e32 v35, 1, v35                              // 000000002E7C: 20464681
	v_lshlrev_b32_e32 v35, 4, v35                              // 000000002E80: 24464684
	v_and_b32_e32 v36, 1, v0                                   // 000000002E84: 26480081
	v_lshlrev_b32_e32 v36, 1, v36                              // 000000002E88: 24484881
	v_and_b32_e32 v37, 31, v0                                  // 000000002E8C: 264A009F
	v_lshrrev_b32_e32 v37, 4, v37                              // 000000002E90: 204A4A84
	v_lshlrev_b32_e32 v37, 2, v37                              // 000000002E94: 244A4A82
	v_lshrrev_b32_e32 v38, 5, v0                               // 000000002E98: 204C0085
	s_mov_b32 s56, 0x900                                       // 000000002E9C: BEB800FF 00000900
	v_mul_i32_i24_e32 v38, s56, v38                            // 000000002EA4: 0C4C4C38
	v_add_u32_e32 v5, v35, v36                                 // 000000002EA8: 680A4923
	v_add_u32_e32 v5, v37, v5                                  // 000000002EAC: 680A0B25
	v_add_u32_e32 v5, v38, v5                                  // 000000002EB0: 680A0B26
	s_mov_b32 s56, 0x88                                        // 000000002EB4: BEB800FF 00000088
	v_add_u32_e32 v6, s56, v5                                  // 000000002EBC: 680C0A38
	s_mov_b32 s56, 8                                           // 000000002EC0: BEB80088
	v_add_u32_e32 v7, s56, v5                                  // 000000002EC4: 680E0A38
	s_mov_b32 s56, 0x80                                        // 000000002EC8: BEB800FF 00000080
	v_add_u32_e32 v8, s56, v5                                  // 000000002ED0: 68100A38
	v_lshlrev_b32_e32 v5, 2, v5                                // 000000002ED4: 240A0A82
	v_lshlrev_b32_e32 v6, 2, v6                                // 000000002ED8: 240C0C82
	v_lshlrev_b32_e32 v7, 2, v7                                // 000000002EDC: 240E0E82
	v_lshlrev_b32_e32 v8, 2, v8                                // 000000002EE0: 24101082
	s_and_b32 s56, s7, 1                                       // 000000002EE4: 86388107
	s_mov_b32 s57, 0x1000                                      // 000000002EE8: BEB900FF 00001000
	s_mul_i32 s56, s56, s57                                    // 000000002EF0: 92383938
	v_add_u32_e32 v5, s56, v5                                  // 000000002EF4: 680A0A38
	v_add_u32_e32 v6, s56, v6                                  // 000000002EF8: 680C0C38
	v_add_u32_e32 v7, s56, v7                                  // 000000002EFC: 680E0E38
	v_add_u32_e32 v8, s56, v8                                  // 000000002F00: 68101038
	s_mov_b32 s56, 0x2000                                      // 000000002F04: BEB800FF 00002000
	v_add_u32_e32 v5, s56, v5                                  // 000000002F0C: 680A0A38
	v_add_u32_e32 v6, s56, v6                                  // 000000002F10: 680C0C38
	v_add_u32_e32 v7, s56, v7                                  // 000000002F14: 680E0E38
	v_add_u32_e32 v8, s56, v8                                  // 000000002F18: 68101038
	s_mov_b32 s56, 0x9000                                      // 000000002F1C: BEB800FF 00009000
	v_add_u32_e32 v9, s56, v5                                  // 000000002F24: 68120A38
	v_add_u32_e32 v10, s56, v6                                 // 000000002F28: 68140C38
	v_add_u32_e32 v11, s56, v7                                 // 000000002F2C: 68160E38
	v_add_u32_e32 v12, s56, v8                                 // 000000002F30: 68181038
	v_add_u32_e32 v13, s56, v9                                 // 000000002F34: 681A1238
	v_add_u32_e32 v14, s56, v10                                // 000000002F38: 681C1438
	v_add_u32_e32 v15, s56, v11                                // 000000002F3C: 681E1638
	v_add_u32_e32 v16, s56, v12                                // 000000002F40: 68201838
	v_add_u32_e32 v17, s56, v13                                // 000000002F44: 68221A38
	v_add_u32_e32 v18, s56, v14                                // 000000002F48: 68241C38
	v_add_u32_e32 v19, s56, v15                                // 000000002F4C: 68261E38
	v_add_u32_e32 v20, s56, v16                                // 000000002F50: 68282038
	v_mul_u32_u24_e64 v217, v31, s68                           // 000000002F54: D10800D9 0000891F
	v_add_u32_e32 v217, v217, v1                               // 000000002F5C: 69B203D9
	s_mov_b32 s56, 0x14000                                     // 000000002F60: BEB800FF 00014000
	s_mul_i32 s57, s7, 0x2400                                  // 000000002F68: 9239FF07 00002400
	s_add_u32 m0, s56, s57                                     // 000000002F70: 807C3938
	buffer_load_dwordx4 v217, s[20:23], 0 offen lds            // 000000002F74: E05D1000 800500D9
	s_add_i32 m0, m0, 0x3c0                                    // 000000002F7C: 817CFF7C 000003C0
	buffer_load_dwordx4 v217, s[20:23], 0 offen offset:64 lds  // 000000002F84: E05D1040 800500D9
	s_add_i32 m0, m0, 0x3c0                                    // 000000002F8C: 817CFF7C 000003C0
	buffer_load_dwordx4 v217, s[20:23], 0 offen offset:128 lds // 000000002F94: E05D1080 800500D9
	s_add_i32 m0, m0, 0x3c0                                    // 000000002F9C: 817CFF7C 000003C0
	buffer_load_dwordx4 v217, s[20:23], 0 offen offset:192 lds // 000000002FA4: E05D10C0 800500D9
	s_add_i32 m0, m0, 0x3c0                                    // 000000002FAC: 817CFF7C 000003C0
	buffer_load_dwordx4 v217, s[20:23], 0 offen offset:256 lds // 000000002FB4: E05D1100 800500D9
	s_add_i32 m0, m0, 0x3c0                                    // 000000002FBC: 817CFF7C 000003C0
	buffer_load_dwordx4 v217, s[20:23], 0 offen offset:320 lds // 000000002FC4: E05D1140 800500D9
	s_add_i32 m0, m0, 0x3c0                                    // 000000002FCC: 817CFF7C 000003C0
	buffer_load_dwordx4 v217, s[20:23], 0 offen offset:384 lds // 000000002FD4: E05D1180 800500D9
	s_add_i32 m0, m0, 0x3c0                                    // 000000002FDC: 817CFF7C 000003C0
	buffer_load_dwordx4 v217, s[20:23], 0 offen offset:448 lds // 000000002FE4: E05D11C0 800500D9
	s_add_i32 m0, m0, 0x3c0                                    // 000000002FEC: 817CFF7C 000003C0
	buffer_load_dwordx4 v217, s[20:23], 0 offen offset:512 lds // 000000002FF4: E05D1200 800500D9
	s_add_i32 m0, m0, 0x3c0                                    // 000000002FFC: 817CFF7C 000003C0
	buffer_load_dword v33, v34, s[24:27], 0 offen              // 000000003004: E0501000 80062122
	v_add_u32_e32 v34, s73, v34                                // 00000000300C: 68444449
	s_waitcnt vmcnt(10)                                        // 000000003010: BF8C0F7A
	s_barrier                                                  // 000000003014: BF8A0000
	s_waitcnt lgkmcnt(0)                                       // 000000003018: BF8CC07F
	ds_read_b128 a[72:75], v24                                 // 00000000301C: DBFE0000 48000018
	ds_read_b128 a[76:79], v25                                 // 000000003024: DBFE0000 4C000019
	ds_read_b128 a[80:83], v24 offset:1024                     // 00000000302C: DBFE0400 50000018
	ds_read_b128 a[84:87], v25 offset:1024                     // 000000003034: DBFE0400 54000019
	ds_read_b128 a[88:91], v24 offset:2048                     // 00000000303C: DBFE0800 58000018
	ds_read_b128 a[92:95], v25 offset:2048                     // 000000003044: DBFE0800 5C000019
	ds_read_b128 a[96:99], v24 offset:3072                     // 00000000304C: DBFE0C00 60000018
	ds_read_b128 a[100:103], v25 offset:3072                   // 000000003054: DBFE0C00 64000019
	ds_read_b128 a[104:107], v24 offset:4096                   // 00000000305C: DBFE1000 68000018
	ds_read_b128 a[108:111], v25 offset:4096                   // 000000003064: DBFE1000 6C000019
	ds_read_b128 a[112:115], v24 offset:5120                   // 00000000306C: DBFE1400 70000018
	ds_read_b128 a[116:119], v25 offset:5120                   // 000000003074: DBFE1400 74000019
	ds_read_b128 a[120:123], v24 offset:6144                   // 00000000307C: DBFE1800 78000018
	ds_read_b128 a[124:127], v25 offset:6144                   // 000000003084: DBFE1800 7C000019
	ds_read_b128 a[128:131], v24 offset:7168                   // 00000000308C: DBFE1C00 80000018
	ds_read_b128 a[132:135], v25 offset:7168                   // 000000003094: DBFE1C00 84000019
	ds_read_b128 a[136:139], v24 offset:8192                   // 00000000309C: DBFE2000 88000018
	ds_read_b128 a[140:143], v25 offset:8192                   // 0000000030A4: DBFE2000 8C000019
	s_cmp_lt_u32 s71, 1                                        // 0000000030AC: BF0A8147
	s_cbranch_scc1 label_6C3C                                  // 0000000030B0: BF8517E2
	s_waitcnt lgkmcnt(4)                                       // 0000000030B4: BF8CC47F
	s_waitcnt vmcnt(0)                                         // 0000000030B8: BF8C0F70
	s_barrier                                                  // 0000000030BC: BF8A0000
	v_mfma_f32_32x32x64_f8f6f4 v[44:59], a[72:79], a[0:7], 0   // 0000000030C0: D3AE002C 1A020148
	v_mul_u32_u24_e64 v217, v32, s68                           // 0000000030C8: D10800D9 00008920
	v_add_u32_e32 v217, v217, v1                               // 0000000030D0: 69B203D9
	buffer_load_dword v30, v34, s[24:27], 0 offen              // 0000000030D4: E0501000 80061E22
	ds_read_b128 a[72:75], v26                                 // 0000000030DC: DBFE0000 4800001A
	ds_read_b128 a[76:79], v27                                 // 0000000030E4: DBFE0000 4C00001B
	v_mfma_f32_32x32x64_f8f6f4 v[44:59], a[80:87], a[8:15], v[44:59]// 0000000030EC: D3AE002C 1CB21150
	s_mov_b32 s56, 0x1d000                                     // 0000000030F4: BEB800FF 0001D000
	s_mul_i32 s57, s7, 0x2400                                  // 0000000030FC: 9239FF07 00002400
	s_add_u32 m0, s56, s57                                     // 000000003104: 807C3938
	buffer_load_dwordx4 v217, s[20:23], 0 offen lds            // 000000003108: E05D1000 800500D9
	s_add_i32 m0, m0, 0x3c0                                    // 000000003110: 817CFF7C 000003C0
	ds_read_b128 a[80:83], v26 offset:1024                     // 000000003118: DBFE0400 5000001A
	ds_read_b128 a[84:87], v27 offset:1024                     // 000000003120: DBFE0400 5400001B
	v_mfma_f32_32x32x64_f8f6f4 v[44:59], a[88:95], a[16:23], v[44:59]// 000000003128: D3AE002C 1CB22158
	ds_read_b128 a[88:91], v26 offset:2048                     // 000000003130: DBFE0800 5800001A
	ds_read_b128 a[92:95], v27 offset:2048                     // 000000003138: DBFE0800 5C00001B
	v_mfma_f32_32x32x64_f8f6f4 v[44:59], a[96:103], a[24:31], v[44:59]// 000000003140: D3AE002C 1CB23160
	buffer_load_dwordx4 v217, s[20:23], 0 offen offset:64 lds  // 000000003148: E05D1040 800500D9
	s_add_i32 m0, m0, 0x3c0                                    // 000000003150: 817CFF7C 000003C0
	ds_read_b128 a[96:99], v26 offset:3072                     // 000000003158: DBFE0C00 6000001A
	ds_read_b128 a[100:103], v27 offset:3072                   // 000000003160: DBFE0C00 6400001B
	v_mfma_f32_32x32x64_f8f6f4 v[44:59], a[104:111], a[32:39], v[44:59]// 000000003168: D3AE002C 1CB24168
	ds_read_b128 a[104:107], v26 offset:4096                   // 000000003170: DBFE1000 6800001A
	ds_read_b128 a[108:111], v27 offset:4096                   // 000000003178: DBFE1000 6C00001B
	v_mfma_f32_32x32x64_f8f6f4 v[44:59], a[112:119], a[40:47], v[44:59]// 000000003180: D3AE002C 1CB25170
	buffer_load_dwordx4 v217, s[20:23], 0 offen offset:128 lds // 000000003188: E05D1080 800500D9
	s_add_i32 m0, m0, 0x3c0                                    // 000000003190: 817CFF7C 000003C0
	ds_read_b128 a[112:115], v26 offset:5120                   // 000000003198: DBFE1400 7000001A
	ds_read_b128 a[116:119], v27 offset:5120                   // 0000000031A0: DBFE1400 7400001B
	v_mfma_f32_32x32x64_f8f6f4 v[44:59], a[120:127], a[48:55], v[44:59]// 0000000031A8: D3AE002C 1CB26178
	ds_read_b128 a[120:123], v26 offset:6144                   // 0000000031B0: DBFE1800 7800001A
	ds_read_b128 a[124:127], v27 offset:6144                   // 0000000031B8: DBFE1800 7C00001B
	v_mfma_f32_32x32x64_f8f6f4 v[44:59], a[128:135], a[56:63], v[44:59]// 0000000031C0: D3AE002C 1CB27180
	buffer_load_dwordx4 v217, s[20:23], 0 offen offset:192 lds // 0000000031C8: E05D10C0 800500D9
	s_add_i32 m0, m0, 0x3c0                                    // 0000000031D0: 817CFF7C 000003C0
	ds_read_b128 a[128:131], v26 offset:7168                   // 0000000031D8: DBFE1C00 8000001A
	ds_read_b128 a[132:135], v27 offset:7168                   // 0000000031E0: DBFE1C00 8400001B
	v_mfma_f32_32x32x64_f8f6f4 v[44:59], a[136:143], a[64:71], v[44:59]// 0000000031E8: D3AE002C 1CB28188
	ds_read_b128 a[136:139], v26 offset:8192                   // 0000000031F0: DBFE2000 8800001A
	ds_read_b128 a[140:143], v27 offset:8192                   // 0000000031F8: DBFE2000 8C00001B
	buffer_load_dwordx4 v217, s[20:23], 0 offen offset:256 lds // 000000003200: E05D1100 800500D9
	s_add_i32 m0, m0, 0x3c0                                    // 000000003208: 817CFF7C 000003C0
	buffer_load_dwordx4 v217, s[20:23], 0 offen offset:320 lds // 000000003210: E05D1140 800500D9
	s_add_i32 m0, m0, 0x3c0                                    // 000000003218: 817CFF7C 000003C0
	buffer_load_dwordx4 v217, s[20:23], 0 offen offset:384 lds // 000000003220: E05D1180 800500D9
	s_add_i32 m0, m0, 0x3c0                                    // 000000003228: 817CFF7C 000003C0
	buffer_load_dwordx4 v217, s[20:23], 0 offen offset:448 lds // 000000003230: E05D11C0 800500D9
	s_add_i32 m0, m0, 0x3c0                                    // 000000003238: 817CFF7C 000003C0
	buffer_load_dwordx4 v217, s[20:23], 0 offen offset:512 lds // 000000003240: E05D1200 800500D9
	s_add_i32 m0, m0, 0x3c0                                    // 000000003248: 817CFF7C 000003C0
	v_add_u32_e32 v34, s73, v34                                // 000000003250: 68444449
	s_nop 2                                                    // 000000003254: BF800002
	v_mov_b32_e32 v213, v44                                    // 000000003258: 7FAA032C
	v_max3_f32 v213, v44, v45, v213                            // 00000000325C: D1D300D5 07565B2C
	v_max3_f32 v213, v46, v47, v213                            // 000000003264: D1D300D5 07565F2E
	v_max3_f32 v213, v48, v49, v213                            // 00000000326C: D1D300D5 07566330
	v_max3_f32 v213, v50, v51, v213                            // 000000003274: D1D300D5 07566732
	v_max3_f32 v213, v52, v53, v213                            // 00000000327C: D1D300D5 07566B34
	v_max3_f32 v213, v54, v55, v213                            // 000000003284: D1D300D5 07566F36
	v_max3_f32 v213, v56, v57, v213                            // 00000000328C: D1D300D5 07567338
	v_max3_f32 v213, v58, v59, v213                            // 000000003294: D1D300D5 0756773A
	v_mov_b32_e32 v35, v213                                    // 00000000329C: 7E4603D5
	v_mov_b32_e32 v36, v213                                    // 0000000032A0: 7E4803D5
	s_nop 1                                                    // 0000000032A4: BF800001
	v_permlane32_swap_b32_e32 v35, v36                         // 0000000032A8: 7E46B524
	v_max3_f32 v213, v35, v36, v213                            // 0000000032AC: D1D300D5 07564923
	ds_write_b32 v41, v213                                     // 0000000032B4: D81A0000 0000D529
	s_waitcnt lgkmcnt(0)                                       // 0000000032BC: BF8CC07F
	s_barrier                                                  // 0000000032C0: BF8A0000
	ds_read_b32 v35, v40                                       // 0000000032C4: D86C0000 23000028
	ds_read_b32 v36, v40 offset:256                            // 0000000032CC: D86C0100 24000028
	s_waitcnt lgkmcnt(0)                                       // 0000000032D4: BF8CC07F
	v_max3_f32 v213, v35, v36, v213                            // 0000000032D8: D1D300D5 07564923
	v_mov_b32_e32 v35, 0xff800000                              // 0000000032E0: 7E4602FF FF800000
	v_cmp_eq_u32_e64 s[36:37], v35, v2                         // 0000000032E8: D0CA0024 00020523
	v_max_f32_e32 v216, v213, v2                               // 0000000032F0: 17B005D5
	v_sub_f32_e32 v21, v2, v216                                // 0000000032F4: 042BB102
	v_cndmask_b32_e64 v21, v21, 0, s[36:37]                    // 0000000032F8: D1000015 00910115
	v_mov_b32_e32 v2, v216                                     // 000000003300: 7E0403D8
	v_mul_f32_e32 v212, s5, v216                               // 000000003304: 0BA9B005
	v_mul_f32_e32 v21, s5, v21                                 // 000000003308: 0A2A2A05
	v_exp_f32_e32 v21, v21                                     // 00000000330C: 7E2A4115
	v_fma_f32 v44, v44, s5, -v212                              // 000000003310: D1CB002C 87500B2C
	v_fma_f32 v45, v45, s5, -v212                              // 000000003318: D1CB002D 87500B2D
	v_fma_f32 v46, v46, s5, -v212                              // 000000003320: D1CB002E 87500B2E
	v_fma_f32 v47, v47, s5, -v212                              // 000000003328: D1CB002F 87500B2F
	v_fma_f32 v48, v48, s5, -v212                              // 000000003330: D1CB0030 87500B30
	v_fma_f32 v49, v49, s5, -v212                              // 000000003338: D1CB0031 87500B31
	v_fma_f32 v50, v50, s5, -v212                              // 000000003340: D1CB0032 87500B32
	v_fma_f32 v51, v51, s5, -v212                              // 000000003348: D1CB0033 87500B33
	v_fma_f32 v52, v52, s5, -v212                              // 000000003350: D1CB0034 87500B34
	v_fma_f32 v53, v53, s5, -v212                              // 000000003358: D1CB0035 87500B35
	v_fma_f32 v54, v54, s5, -v212                              // 000000003360: D1CB0036 87500B36
	v_fma_f32 v55, v55, s5, -v212                              // 000000003368: D1CB0037 87500B37
	v_fma_f32 v56, v56, s5, -v212                              // 000000003370: D1CB0038 87500B38
	v_fma_f32 v57, v57, s5, -v212                              // 000000003378: D1CB0039 87500B39
	v_fma_f32 v58, v58, s5, -v212                              // 000000003380: D1CB003A 87500B3A
	v_fma_f32 v59, v59, s5, -v212                              // 000000003388: D1CB003B 87500B3B
	v_mov_b32_e32 v35, 0xffc00000                              // 000000003390: 7E4602FF FFC00000
	v_exp_f32_e32 v44, v44                                     // 000000003398: 7E58412C
	v_exp_f32_e32 v45, v45                                     // 00000000339C: 7E5A412D
	v_exp_f32_e32 v46, v46                                     // 0000000033A0: 7E5C412E
	v_exp_f32_e32 v47, v47                                     // 0000000033A4: 7E5E412F
	v_exp_f32_e32 v48, v48                                     // 0000000033A8: 7E604130
	v_exp_f32_e32 v49, v49                                     // 0000000033AC: 7E624131
	v_exp_f32_e32 v50, v50                                     // 0000000033B0: 7E644132
	v_exp_f32_e32 v51, v51                                     // 0000000033B4: 7E664133
	v_exp_f32_e32 v52, v52                                     // 0000000033B8: 7E684134
	v_exp_f32_e32 v53, v53                                     // 0000000033BC: 7E6A4135
	v_exp_f32_e32 v54, v54                                     // 0000000033C0: 7E6C4136
	v_exp_f32_e32 v55, v55                                     // 0000000033C4: 7E6E4137
	v_exp_f32_e32 v56, v56                                     // 0000000033C8: 7E704138
	v_exp_f32_e32 v57, v57                                     // 0000000033CC: 7E724139
	v_exp_f32_e32 v58, v58                                     // 0000000033D0: 7E74413A
	v_exp_f32_e32 v59, v59                                     // 0000000033D4: 7E76413B
	v_mul_f32_e32 v4, v21, v4                                  // 0000000033D8: 0A080915
	v_mov_b32_e32 v35, v44                                     // 0000000033DC: 7E46032C
	v_add_f32_e32 v35, v45, v35                                // 0000000033E0: 0246472D
	v_add_f32_e32 v35, v46, v35                                // 0000000033E4: 0246472E
	v_add_f32_e32 v35, v47, v35                                // 0000000033E8: 0246472F
	v_add_f32_e32 v35, v48, v35                                // 0000000033EC: 02464730
	v_add_f32_e32 v35, v49, v35                                // 0000000033F0: 02464731
	v_add_f32_e32 v35, v50, v35                                // 0000000033F4: 02464732
	v_add_f32_e32 v35, v51, v35                                // 0000000033F8: 02464733
	v_add_f32_e32 v35, v52, v35                                // 0000000033FC: 02464734
	v_add_f32_e32 v35, v53, v35                                // 000000003400: 02464735
	v_add_f32_e32 v35, v54, v35                                // 000000003404: 02464736
	;; [unrolled: 1-line block ×3, first 2 shown]
	v_add_f32_e32 v35, v56, v35                                // 00000000340C: 02464738
	v_add_f32_e32 v35, v57, v35                                // 000000003410: 02464739
	v_add_f32_e32 v35, v58, v35                                // 000000003414: 0246473A
	v_add_f32_e32 v35, v59, v35                                // 000000003418: 0246473B
	v_add_f32_e32 v4, v35, v4                                  // 00000000341C: 02080923
	v_cvt_pk_fp8_f32 v44, v44, v45                             // 000000003420: D2A2002C 00025B2C
	v_cvt_pk_fp8_f32 v44, v46, v47 op_sel:[0,0,1]              // 000000003428: D2A2402C 00025F2E
	v_cvt_pk_fp8_f32 v45, v48, v49                             // 000000003430: D2A2002D 00026330
	v_cvt_pk_fp8_f32 v45, v50, v51 op_sel:[0,0,1]              // 000000003438: D2A2402D 00026732
	v_cvt_pk_fp8_f32 v46, v52, v53                             // 000000003440: D2A2002E 00026B34
	v_cvt_pk_fp8_f32 v46, v54, v55 op_sel:[0,0,1]              // 000000003448: D2A2402E 00026F36
	v_cvt_pk_fp8_f32 v47, v56, v57                             // 000000003450: D2A2002F 00027338
	v_cvt_pk_fp8_f32 v47, v58, v59 op_sel:[0,0,1]              // 000000003458: D2A2402F 0002773A
	ds_write_b128 v43, v[44:47] offset:1024                    // 000000003460: D9BE0400 00002C2B
	s_waitcnt lgkmcnt(0)                                       // 000000003468: BF8CC07F
	s_barrier                                                  // 00000000346C: BF8A0000
	ds_read_b128 v[44:47], v42 offset:1024                     // 000000003470: D9FE0400 2C00002A
	ds_read_b128 v[48:51], v42 offset:2048                     // 000000003478: D9FE0800 3000002A
	s_waitcnt lgkmcnt(0)                                       // 000000003480: BF8CC07F
	v_permlane32_swap_b32_e32 v44, v46                         // 000000003484: 7E58B52E
	v_permlane32_swap_b32_e32 v45, v47                         // 000000003488: 7E5AB52F
	v_swap_b32 v45, v46                                        // 00000000348C: 7E5AA32E
	v_permlane32_swap_b32_e32 v48, v50                         // 000000003490: 7E60B532
	v_permlane32_swap_b32_e32 v49, v51                         // 000000003494: 7E62B533
	v_swap_b32 v49, v50                                        // 000000003498: 7E62A332
	s_addk_i32 s70, 0x1                                        // 00000000349C: B7460001
	s_cmp_eq_u32 s71, s70                                      // 0000000034A0: BF064647
	s_cbranch_scc1 label_4C78                                  // 0000000034A4: BF850EF4
	s_waitcnt lgkmcnt(4)                                       // 0000000034A8: BF8CC47F
	v_mfma_f32_32x32x64_f8f6f4 v[60:75], a[72:79], a[0:7], 0   // 0000000034AC: D3AE003C 1A020148
	v_mul_u32_u24_e64 v217, v33, s68                           // 0000000034B4: D10800D9 00008921
	v_add_u32_e32 v217, v217, v1                               // 0000000034BC: 69B203D9
	buffer_load_dword v31, v34, s[24:27], 0 offen              // 0000000034C0: E0501000 80061F22
	ds_read_b64_tr_b8 a[72:73], v9                             // 0000000034C8: DBC40000 48000009
	ds_read_b64_tr_b8 a[74:75], v10                            // 0000000034D0: DBC40000 4A00000A
	ds_read_b64_tr_b8 a[76:77], v9 offset:18432                // 0000000034D8: DBC44800 4C000009
	ds_read_b64_tr_b8 a[78:79], v10 offset:18432               // 0000000034E0: DBC44800 4E00000A
	v_mfma_f32_32x32x64_f8f6f4 v[60:75], a[80:87], a[8:15], v[60:75]// 0000000034E8: D3AE003C 1CF21150
	s_mov_b32 s56, 0x2000                                      // 0000000034F0: BEB800FF 00002000
	s_mul_i32 s57, s7, 0x2400                                  // 0000000034F8: 9239FF07 00002400
	s_add_u32 m0, s56, s57                                     // 000000003500: 807C3938
	buffer_load_dwordx4 v217, s[20:23], 0 offen lds            // 000000003504: E05D1000 800500D9
	s_add_i32 m0, m0, 0x3c0                                    // 00000000350C: 817CFF7C 000003C0
	ds_read_b64_tr_b8 a[80:81], v11                            // 000000003514: DBC40000 5000000B
	ds_read_b64_tr_b8 a[82:83], v12                            // 00000000351C: DBC40000 5200000C
	ds_read_b64_tr_b8 a[84:85], v11 offset:18432               // 000000003524: DBC44800 5400000B
	ds_read_b64_tr_b8 a[86:87], v12 offset:18432               // 00000000352C: DBC44800 5600000C
	v_mfma_f32_32x32x64_f8f6f4 v[60:75], a[88:95], a[16:23], v[60:75]// 000000003534: D3AE003C 1CF22158
	ds_read_b64_tr_b8 a[88:89], v9 offset:1024                 // 00000000353C: DBC40400 58000009
	ds_read_b64_tr_b8 a[90:91], v10 offset:1024                // 000000003544: DBC40400 5A00000A
	ds_read_b64_tr_b8 a[92:93], v9 offset:19456                // 00000000354C: DBC44C00 5C000009
	ds_read_b64_tr_b8 a[94:95], v10 offset:19456               // 000000003554: DBC44C00 5E00000A
	v_mfma_f32_32x32x64_f8f6f4 v[60:75], a[96:103], a[24:31], v[60:75]// 00000000355C: D3AE003C 1CF23160
	buffer_load_dwordx4 v217, s[20:23], 0 offen offset:64 lds  // 000000003564: E05D1040 800500D9
	s_add_i32 m0, m0, 0x3c0                                    // 00000000356C: 817CFF7C 000003C0
	ds_read_b64_tr_b8 a[96:97], v11 offset:1024                // 000000003574: DBC40400 6000000B
	ds_read_b64_tr_b8 a[98:99], v12 offset:1024                // 00000000357C: DBC40400 6200000C
	ds_read_b64_tr_b8 a[100:101], v11 offset:19456             // 000000003584: DBC44C00 6400000B
	ds_read_b64_tr_b8 a[102:103], v12 offset:19456             // 00000000358C: DBC44C00 6600000C
	v_mfma_f32_32x32x64_f8f6f4 v[60:75], a[104:111], a[32:39], v[60:75]// 000000003594: D3AE003C 1CF24168
	ds_read_b64_tr_b8 a[104:105], v9 offset:2048               // 00000000359C: DBC40800 68000009
	ds_read_b64_tr_b8 a[106:107], v10 offset:2048              // 0000000035A4: DBC40800 6A00000A
	ds_read_b64_tr_b8 a[108:109], v9 offset:20480              // 0000000035AC: DBC45000 6C000009
	ds_read_b64_tr_b8 a[110:111], v10 offset:20480             // 0000000035B4: DBC45000 6E00000A
	v_mfma_f32_32x32x64_f8f6f4 v[60:75], a[112:119], a[40:47], v[60:75]// 0000000035BC: D3AE003C 1CF25170
	buffer_load_dwordx4 v217, s[20:23], 0 offen offset:128 lds // 0000000035C4: E05D1080 800500D9
	s_add_i32 m0, m0, 0x3c0                                    // 0000000035CC: 817CFF7C 000003C0
	ds_read_b64_tr_b8 a[112:113], v11 offset:2048              // 0000000035D4: DBC40800 7000000B
	ds_read_b64_tr_b8 a[114:115], v12 offset:2048              // 0000000035DC: DBC40800 7200000C
	ds_read_b64_tr_b8 a[116:117], v11 offset:20480             // 0000000035E4: DBC45000 7400000B
	ds_read_b64_tr_b8 a[118:119], v12 offset:20480             // 0000000035EC: DBC45000 7600000C
	v_mfma_f32_32x32x64_f8f6f4 v[60:75], a[120:127], a[48:55], v[60:75]// 0000000035F4: D3AE003C 1CF26178
	ds_read_b64_tr_b8 a[120:121], v9 offset:3072               // 0000000035FC: DBC40C00 78000009
	ds_read_b64_tr_b8 a[122:123], v10 offset:3072              // 000000003604: DBC40C00 7A00000A
	ds_read_b64_tr_b8 a[124:125], v9 offset:21504              // 00000000360C: DBC45400 7C000009
	ds_read_b64_tr_b8 a[126:127], v10 offset:21504             // 000000003614: DBC45400 7E00000A
	v_mfma_f32_32x32x64_f8f6f4 v[60:75], a[128:135], a[56:63], v[60:75]// 00000000361C: D3AE003C 1CF27180
	buffer_load_dwordx4 v217, s[20:23], 0 offen offset:192 lds // 000000003624: E05D10C0 800500D9
	s_add_i32 m0, m0, 0x3c0                                    // 00000000362C: 817CFF7C 000003C0
	ds_read_b64_tr_b8 a[128:129], v11 offset:3072              // 000000003634: DBC40C00 8000000B
	ds_read_b64_tr_b8 a[130:131], v12 offset:3072              // 00000000363C: DBC40C00 8200000C
	ds_read_b64_tr_b8 a[132:133], v11 offset:21504             // 000000003644: DBC45400 8400000B
	ds_read_b64_tr_b8 a[134:135], v12 offset:21504             // 00000000364C: DBC45400 8600000C
	v_mfma_f32_32x32x64_f8f6f4 v[60:75], a[136:143], a[64:71], v[60:75]// 000000003654: D3AE003C 1CF28188
	buffer_load_dwordx4 v217, s[20:23], 0 offen offset:256 lds // 00000000365C: E05D1100 800500D9
	s_add_i32 m0, m0, 0x3c0                                    // 000000003664: 817CFF7C 000003C0
	buffer_load_dwordx4 v217, s[20:23], 0 offen offset:320 lds // 00000000366C: E05D1140 800500D9
	s_add_i32 m0, m0, 0x3c0                                    // 000000003674: 817CFF7C 000003C0
	buffer_load_dwordx4 v217, s[20:23], 0 offen offset:384 lds // 00000000367C: E05D1180 800500D9
	s_add_i32 m0, m0, 0x3c0                                    // 000000003684: 817CFF7C 000003C0
	buffer_load_dwordx4 v217, s[20:23], 0 offen offset:448 lds // 00000000368C: E05D11C0 800500D9
	s_add_i32 m0, m0, 0x3c0                                    // 000000003694: 817CFF7C 000003C0
	buffer_load_dwordx4 v217, s[20:23], 0 offen offset:512 lds // 00000000369C: E05D1200 800500D9
	s_add_i32 m0, m0, 0x3c0                                    // 0000000036A4: 817CFF7C 000003C0
	v_add_u32_e32 v34, s73, v34                                // 0000000036AC: 68444449
	s_addk_i32 s70, 0x1                                        // 0000000036B0: B7460001
	s_cmp_eq_u32 s71, s70                                      // 0000000036B4: BF064647
	s_cbranch_scc1 label_4E50                                  // 0000000036B8: BF850EE5
	s_cmp_lt_i32 s7, 2                                         // 0000000036BC: BF048207
	s_cbranch_scc0 label_2FA4                                  // 0000000036C0: BF840738

00000000000036c4 <label_12C4>:
	v_mul_u32_u24_e64 v217, v30, s68                           // 0000000036C4: D10800D9 0000891E
	v_add_u32_e32 v217, v217, v1                               // 0000000036CC: 69B203D9
	s_waitcnt vmcnt(10)                                        // 0000000036D0: BF8C0F7A
	s_barrier                                                  // 0000000036D4: BF8A0000
	s_waitcnt lgkmcnt(8)                                       // 0000000036D8: BF8CC87F
	v_mfma_f32_32x32x64_f8f6f4 v[76:91], a[72:79], v[44:51], v[76:91]// 0000000036DC: D3AE004C 0D325948
	ds_read_b128 a[72:75], v28                                 // 0000000036E4: DBFE0000 4800001C
	ds_read_b128 a[76:79], v29                                 // 0000000036EC: DBFE0000 4C00001D
	v_mov_b32_e32 v213, v60                                    // 0000000036F4: 7FAA033C
	v_max3_f32 v213, v60, v61, v213                            // 0000000036F8: D1D300D5 07567B3C
	v_max3_f32 v213, v62, v63, v213                            // 000000003700: D1D300D5 07567F3E
	v_max3_f32 v213, v64, v65, v213                            // 000000003708: D1D300D5 07568340
	v_max3_f32 v213, v66, v67, v213                            // 000000003710: D1D300D5 07568742
	v_max3_f32 v213, v68, v69, v213                            // 000000003718: D1D300D5 07568B44
	v_max3_f32 v213, v70, v71, v213                            // 000000003720: D1D300D5 07568F46
	v_max3_f32 v213, v72, v73, v213                            // 000000003728: D1D300D5 07569348
	v_max3_f32 v213, v74, v75, v213                            // 000000003730: D1D300D5 0756974A
	v_mov_b32_e32 v35, v213                                    // 000000003738: 7E4603D5
	v_mov_b32_e32 v36, v213                                    // 00000000373C: 7E4803D5
	s_nop 0                                                    // 000000003740: BF800000
	v_mfma_f32_32x32x64_f8f6f4 v[92:107], a[80:87], v[44:51], v[92:107]// 000000003744: D3AE005C 0D725950
	v_permlane32_swap_b32_e32 v35, v36                         // 00000000374C: 7E46B524
	v_max3_f32 v213, v35, v36, v213                            // 000000003750: D1D300D5 07564923
	ds_write_b32 v41, v213                                     // 000000003758: D81A0000 0000D529
	s_mov_b32 s56, 0xb000                                      // 000000003760: BEB800FF 0000B000
	s_mul_i32 s57, s7, 0x2400                                  // 000000003768: 9239FF07 00002400
	s_add_u32 m0, s56, s57                                     // 000000003770: 807C3938
	buffer_load_dwordx4 v217, s[20:23], 0 offen lds            // 000000003774: E05D1000 800500D9
	s_add_i32 m0, m0, 0x3c0                                    // 00000000377C: 817CFF7C 000003C0
	buffer_load_dwordx4 v217, s[20:23], 0 offen offset:64 lds  // 000000003784: E05D1040 800500D9
	s_add_i32 m0, m0, 0x3c0                                    // 00000000378C: 817CFF7C 000003C0
	s_waitcnt lgkmcnt(0)                                       // 000000003794: BF8CC07F
	s_barrier                                                  // 000000003798: BF8A0000
	v_mfma_f32_32x32x64_f8f6f4 v[108:123], a[88:95], v[44:51], v[108:123]// 00000000379C: D3AE006C 0DB25958
	ds_read_b32 v35, v40                                       // 0000000037A4: D86C0000 23000028
	ds_read_b32 v36, v40 offset:256                            // 0000000037AC: D86C0100 24000028
	s_waitcnt lgkmcnt(0)                                       // 0000000037B4: BF8CC07F
	v_max3_f32 v213, v35, v36, v213                            // 0000000037B8: D1D300D5 07564923
	v_mov_b32_e32 v35, 0xff800000                              // 0000000037C0: 7E4602FF FF800000
	v_cmp_eq_u32_e64 s[36:37], v35, v2                         // 0000000037C8: D0CA0024 00020523
	v_max_f32_e32 v216, v213, v2                               // 0000000037D0: 17B005D5
	v_sub_f32_e32 v21, v2, v216                                // 0000000037D4: 042BB102
	v_cndmask_b32_e64 v21, v21, 0, s[36:37]                    // 0000000037D8: D1000015 00910115
	v_mfma_f32_32x32x64_f8f6f4 v[124:139], a[96:103], v[44:51], v[124:139]// 0000000037E0: D3AE007C 0DF25960
	buffer_load_dwordx4 v217, s[20:23], 0 offen offset:128 lds // 0000000037E8: E05D1080 800500D9
	s_add_i32 m0, m0, 0x3c0                                    // 0000000037F0: 817CFF7C 000003C0
	v_mov_b32_e32 v2, v216                                     // 0000000037F8: 7E0403D8
	v_mul_f32_e32 v212, s5, v216                               // 0000000037FC: 0BA9B005
	v_mul_f32_e32 v21, s5, v21                                 // 000000003800: 0A2A2A05
	v_exp_f32_e32 v21, v21                                     // 000000003804: 7E2A4115
	v_fma_f32 v60, v60, s5, -v212                              // 000000003808: D1CB003C 87500B3C
	v_fma_f32 v61, v61, s5, -v212                              // 000000003810: D1CB003D 87500B3D
	v_fma_f32 v62, v62, s5, -v212                              // 000000003818: D1CB003E 87500B3E
	v_fma_f32 v63, v63, s5, -v212                              // 000000003820: D1CB003F 87500B3F
	v_fma_f32 v64, v64, s5, -v212                              // 000000003828: D1CB0040 87500B40
	v_fma_f32 v65, v65, s5, -v212                              // 000000003830: D1CB0041 87500B41
	v_fma_f32 v66, v66, s5, -v212                              // 000000003838: D1CB0042 87500B42
	v_fma_f32 v67, v67, s5, -v212                              // 000000003840: D1CB0043 87500B43
	v_fma_f32 v68, v68, s5, -v212                              // 000000003848: D1CB0044 87500B44
	v_mfma_f32_32x32x64_f8f6f4 v[140:155], a[104:111], v[44:51], v[140:155]// 000000003850: D3AE008C 0E325968
	ds_read_b128 a[80:83], v28 offset:1024                     // 000000003858: DBFE0400 5000001C
	ds_read_b128 a[84:87], v29 offset:1024                     // 000000003860: DBFE0400 5400001D
	ds_read_b128 a[88:91], v28 offset:2048                     // 000000003868: DBFE0800 5800001C
	ds_read_b128 a[92:95], v29 offset:2048                     // 000000003870: DBFE0800 5C00001D
	ds_read_b128 a[96:99], v28 offset:3072                     // 000000003878: DBFE0C00 6000001C
	ds_read_b128 a[100:103], v29 offset:3072                   // 000000003880: DBFE0C00 6400001D
	v_fma_f32 v69, v69, s5, -v212                              // 000000003888: D1CB0045 87500B45
	v_fma_f32 v70, v70, s5, -v212                              // 000000003890: D1CB0046 87500B46
	v_fma_f32 v71, v71, s5, -v212                              // 000000003898: D1CB0047 87500B47
	v_fma_f32 v72, v72, s5, -v212                              // 0000000038A0: D1CB0048 87500B48
	v_fma_f32 v73, v73, s5, -v212                              // 0000000038A8: D1CB0049 87500B49
	v_fma_f32 v74, v74, s5, -v212                              // 0000000038B0: D1CB004A 87500B4A
	v_fma_f32 v75, v75, s5, -v212                              // 0000000038B8: D1CB004B 87500B4B
	v_exp_f32_e32 v60, v60                                     // 0000000038C0: 7E78413C
	v_exp_f32_e32 v61, v61                                     // 0000000038C4: 7E7A413D
	v_mfma_f32_32x32x64_f8f6f4 v[156:171], a[112:119], v[44:51], v[156:171]// 0000000038C8: D3AE009C 0E725970
	buffer_load_dwordx4 v217, s[20:23], 0 offen offset:192 lds // 0000000038D0: E05D10C0 800500D9
	s_add_i32 m0, m0, 0x3c0                                    // 0000000038D8: 817CFF7C 000003C0
	v_exp_f32_e32 v62, v62                                     // 0000000038E0: 7E7C413E
	v_exp_f32_e32 v63, v63                                     // 0000000038E4: 7E7E413F
	v_exp_f32_e32 v64, v64                                     // 0000000038E8: 7E804140
	v_exp_f32_e32 v65, v65                                     // 0000000038EC: 7E824141
	v_exp_f32_e32 v66, v66                                     // 0000000038F0: 7E844142
	v_exp_f32_e32 v67, v67                                     // 0000000038F4: 7E864143
	v_exp_f32_e32 v68, v68                                     // 0000000038F8: 7E884144
	v_mfma_f32_32x32x64_f8f6f4 v[172:187], a[120:127], v[44:51], v[172:187]// 0000000038FC: D3AE00AC 0EB25978
	ds_read_b128 a[104:107], v28 offset:4096                   // 000000003904: DBFE1000 6800001C
	ds_read_b128 a[108:111], v29 offset:4096                   // 00000000390C: DBFE1000 6C00001D
	ds_read_b128 a[112:115], v28 offset:5120                   // 000000003914: DBFE1400 7000001C
	ds_read_b128 a[116:119], v29 offset:5120                   // 00000000391C: DBFE1400 7400001D
	ds_read_b128 a[120:123], v28 offset:6144                   // 000000003924: DBFE1800 7800001C
	ds_read_b128 a[124:127], v29 offset:6144                   // 00000000392C: DBFE1800 7C00001D
	v_exp_f32_e32 v69, v69                                     // 000000003934: 7E8A4145
	v_exp_f32_e32 v70, v70                                     // 000000003938: 7E8C4146
	v_exp_f32_e32 v71, v71                                     // 00000000393C: 7E8E4147
	v_exp_f32_e32 v72, v72                                     // 000000003940: 7E904148
	v_exp_f32_e32 v73, v73                                     // 000000003944: 7E924149
	v_mfma_f32_32x32x64_f8f6f4 v[188:203], a[128:135], v[44:51], v[188:203]// 000000003948: D3AE00BC 0EF25980
	ds_read_b128 a[128:131], v28 offset:7168                   // 000000003950: DBFE1C00 8000001C
	ds_read_b128 a[132:135], v29 offset:7168                   // 000000003958: DBFE1C00 8400001D
	ds_read_b128 a[136:139], v28 offset:8192                   // 000000003960: DBFE2000 8800001C
	ds_read_b128 a[140:143], v29 offset:8192                   // 000000003968: DBFE2000 8C00001D
	v_exp_f32_e32 v74, v74                                     // 000000003970: 7E94414A
	v_exp_f32_e32 v75, v75                                     // 000000003974: 7E96414B
	v_mul_f32_e32 v4, v21, v4                                  // 000000003978: 0A080915
	v_mov_b32_e32 v35, v60                                     // 00000000397C: 7E46033C
	v_add_f32_e32 v35, v61, v35                                // 000000003980: 0246473D
	v_add_f32_e32 v35, v62, v35                                // 000000003984: 0246473E
	v_add_f32_e32 v35, v63, v35                                // 000000003988: 0246473F
	v_add_f32_e32 v35, v64, v35                                // 00000000398C: 02464740
	v_add_f32_e32 v35, v65, v35                                // 000000003990: 02464741
	v_add_f32_e32 v35, v66, v35                                // 000000003994: 02464742
	;; [unrolled: 1-line block ×3, first 2 shown]
	v_add_f32_e32 v35, v68, v35                                // 00000000399C: 02464744
	v_add_f32_e32 v35, v69, v35                                // 0000000039A0: 02464745
	v_add_f32_e32 v35, v70, v35                                // 0000000039A4: 02464746
	v_add_f32_e32 v35, v71, v35                                // 0000000039A8: 02464747
	v_add_f32_e32 v35, v72, v35                                // 0000000039AC: 02464748
	v_add_f32_e32 v35, v73, v35                                // 0000000039B0: 02464749
	v_add_f32_e32 v35, v74, v35                                // 0000000039B4: 0246474A
	v_add_f32_e32 v35, v75, v35                                // 0000000039B8: 0246474B
	v_add_f32_e32 v4, v35, v4                                  // 0000000039BC: 02080923
	v_cvt_pk_fp8_f32 v60, v60, v61                             // 0000000039C0: D2A2003C 00027B3C
	v_cvt_pk_fp8_f32 v60, v62, v63 op_sel:[0,0,1]              // 0000000039C8: D2A2403C 00027F3E
	v_cvt_pk_fp8_f32 v61, v64, v65                             // 0000000039D0: D2A2003D 00028340
	v_cvt_pk_fp8_f32 v61, v66, v67 op_sel:[0,0,1]              // 0000000039D8: D2A2403D 00028742
	v_cvt_pk_fp8_f32 v62, v68, v69                             // 0000000039E0: D2A2003E 00028B44
	v_cvt_pk_fp8_f32 v62, v70, v71 op_sel:[0,0,1]              // 0000000039E8: D2A2403E 00028F46
	v_cvt_pk_fp8_f32 v63, v72, v73                             // 0000000039F0: D2A2003F 00029348
	v_cvt_pk_fp8_f32 v63, v74, v75 op_sel:[0,0,1]              // 0000000039F8: D2A2403F 0002974A
	s_waitcnt lgkmcnt(8)                                       // 000000003A00: BF8CC87F
	v_mfma_f32_32x32x64_f8f6f4 v[44:59], a[72:79], a[0:7], 0   // 000000003A04: D3AE002C 1A020148
	ds_write_b128 v43, v[60:63] offset:1024                    // 000000003A0C: D9BE0400 00003C2B
	buffer_load_dword v32, v34, s[24:27], 0 offen              // 000000003A14: E0501000 80062022
	buffer_load_dwordx4 v217, s[20:23], 0 offen offset:256 lds // 000000003A1C: E05D1100 800500D9
	s_add_i32 m0, m0, 0x3c0                                    // 000000003A24: 817CFF7C 000003C0
	v_mul_f32_e32 v76, v21, v76                                // 000000003A2C: 0A989915
	v_mul_f32_e32 v77, v21, v77                                // 000000003A30: 0A9A9B15
	v_mul_f32_e32 v78, v21, v78                                // 000000003A34: 0A9C9D15
	v_mul_f32_e32 v79, v21, v79                                // 000000003A38: 0A9E9F15
	v_mul_f32_e32 v80, v21, v80                                // 000000003A3C: 0AA0A115
	v_mul_f32_e32 v81, v21, v81                                // 000000003A40: 0AA2A315
	v_mul_f32_e32 v82, v21, v82                                // 000000003A44: 0AA4A515
	v_mul_f32_e32 v83, v21, v83                                // 000000003A48: 0AA6A715
	v_mul_f32_e32 v84, v21, v84                                // 000000003A4C: 0AA8A915
	v_mfma_f32_32x32x64_f8f6f4 v[44:59], a[80:87], a[8:15], v[44:59]// 000000003A50: D3AE002C 1CB21150
	ds_read_b64_tr_b8 a[72:73], v13                            // 000000003A58: DBC40000 4800000D
	ds_read_b64_tr_b8 a[74:75], v14                            // 000000003A60: DBC40000 4A00000E
	ds_read_b64_tr_b8 a[76:77], v13 offset:18432               // 000000003A68: DBC44800 4C00000D
	ds_read_b64_tr_b8 a[78:79], v14 offset:18432               // 000000003A70: DBC44800 4E00000E
	ds_read_b64_tr_b8 a[80:81], v15                            // 000000003A78: DBC40000 5000000F
	ds_read_b64_tr_b8 a[82:83], v16                            // 000000003A80: DBC40000 52000010
	ds_read_b64_tr_b8 a[84:85], v15 offset:18432               // 000000003A88: DBC44800 5400000F
	ds_read_b64_tr_b8 a[86:87], v16 offset:18432               // 000000003A90: DBC44800 56000010
	v_mul_f32_e32 v85, v21, v85                                // 000000003A98: 0AAAAB15
	v_mul_f32_e32 v86, v21, v86                                // 000000003A9C: 0AACAD15
	v_mul_f32_e32 v87, v21, v87                                // 000000003AA0: 0AAEAF15
	v_mul_f32_e32 v88, v21, v88                                // 000000003AA4: 0AB0B115
	v_mul_f32_e32 v89, v21, v89                                // 000000003AA8: 0AB2B315
	v_mul_f32_e32 v90, v21, v90                                // 000000003AAC: 0AB4B515
	v_mul_f32_e32 v91, v21, v91                                // 000000003AB0: 0AB6B715
	v_mul_f32_e32 v92, v21, v92                                // 000000003AB4: 0AB8B915
	v_mul_f32_e32 v93, v21, v93                                // 000000003AB8: 0ABABB15
	v_mul_f32_e32 v94, v21, v94                                // 000000003ABC: 0ABCBD15
	v_mul_f32_e32 v95, v21, v95                                // 000000003AC0: 0ABEBF15
	v_mul_f32_e32 v96, v21, v96                                // 000000003AC4: 0AC0C115
	s_waitcnt lgkmcnt(0)                                       // 000000003AC8: BF8CC07F
	s_barrier                                                  // 000000003ACC: BF8A0000
	v_mfma_f32_32x32x64_f8f6f4 v[44:59], a[88:95], a[16:23], v[44:59]// 000000003AD0: D3AE002C 1CB22158
	ds_read_b128 v[60:63], v42 offset:1024                     // 000000003AD8: D9FE0400 3C00002A
	ds_read_b128 v[64:67], v42 offset:2048                     // 000000003AE0: D9FE0800 4000002A
	buffer_load_dwordx4 v217, s[20:23], 0 offen offset:320 lds // 000000003AE8: E05D1140 800500D9
	s_add_i32 m0, m0, 0x3c0                                    // 000000003AF0: 817CFF7C 000003C0
	v_mul_f32_e32 v97, v21, v97                                // 000000003AF8: 0AC2C315
	v_mul_f32_e32 v98, v21, v98                                // 000000003AFC: 0AC4C515
	v_mul_f32_e32 v99, v21, v99                                // 000000003B00: 0AC6C715
	v_mul_f32_e32 v100, v21, v100                              // 000000003B04: 0AC8C915
	v_mul_f32_e32 v101, v21, v101                              // 000000003B08: 0ACACB15
	v_mul_f32_e32 v102, v21, v102                              // 000000003B0C: 0ACCCD15
	v_mul_f32_e32 v103, v21, v103                              // 000000003B10: 0ACECF15
	v_mul_f32_e32 v104, v21, v104                              // 000000003B14: 0AD0D115
	v_mul_f32_e32 v105, v21, v105                              // 000000003B18: 0AD2D315
	v_mul_f32_e32 v106, v21, v106                              // 000000003B1C: 0AD4D515
	v_mul_f32_e32 v107, v21, v107                              // 000000003B20: 0AD6D715
	v_mul_f32_e32 v108, v21, v108                              // 000000003B24: 0AD8D915
	v_add_u32_e32 v34, s73, v34                                // 000000003B28: 68444449
	v_mfma_f32_32x32x64_f8f6f4 v[44:59], a[96:103], a[24:31], v[44:59]// 000000003B2C: D3AE002C 1CB23160
	ds_read_b64_tr_b8 a[88:89], v13 offset:1024                // 000000003B34: DBC40400 5800000D
	ds_read_b64_tr_b8 a[90:91], v14 offset:1024                // 000000003B3C: DBC40400 5A00000E
	ds_read_b64_tr_b8 a[92:93], v13 offset:19456               // 000000003B44: DBC44C00 5C00000D
	ds_read_b64_tr_b8 a[94:95], v14 offset:19456               // 000000003B4C: DBC44C00 5E00000E
	ds_read_b64_tr_b8 a[96:97], v15 offset:1024                // 000000003B54: DBC40400 6000000F
	ds_read_b64_tr_b8 a[98:99], v16 offset:1024                // 000000003B5C: DBC40400 62000010
	ds_read_b64_tr_b8 a[100:101], v15 offset:19456             // 000000003B64: DBC44C00 6400000F
	ds_read_b64_tr_b8 a[102:103], v16 offset:19456             // 000000003B6C: DBC44C00 66000010
	v_mul_f32_e32 v109, v21, v109                              // 000000003B74: 0ADADB15
	v_mul_f32_e32 v110, v21, v110                              // 000000003B78: 0ADCDD15
	v_mul_f32_e32 v111, v21, v111                              // 000000003B7C: 0ADEDF15
	v_mul_f32_e32 v112, v21, v112                              // 000000003B80: 0AE0E115
	v_mul_f32_e32 v113, v21, v113                              // 000000003B84: 0AE2E315
	v_mul_f32_e32 v114, v21, v114                              // 000000003B88: 0AE4E515
	v_mul_f32_e32 v115, v21, v115                              // 000000003B8C: 0AE6E715
	v_mul_f32_e32 v116, v21, v116                              // 000000003B90: 0AE8E915
	v_mul_f32_e32 v117, v21, v117                              // 000000003B94: 0AEAEB15
	v_mul_f32_e32 v118, v21, v118                              // 000000003B98: 0AECED15
	v_mul_f32_e32 v119, v21, v119                              // 000000003B9C: 0AEEEF15
	v_mul_f32_e32 v120, v21, v120                              // 000000003BA0: 0AF0F115
	v_mfma_f32_32x32x64_f8f6f4 v[44:59], a[104:111], a[32:39], v[44:59]// 000000003BA4: D3AE002C 1CB24168
	buffer_load_dwordx4 v217, s[20:23], 0 offen offset:384 lds // 000000003BAC: E05D1180 800500D9
	s_add_i32 m0, m0, 0x3c0                                    // 000000003BB4: 817CFF7C 000003C0
	v_mul_f32_e32 v121, v21, v121                              // 000000003BBC: 0AF2F315
	v_mul_f32_e32 v122, v21, v122                              // 000000003BC0: 0AF4F515
	v_mul_f32_e32 v123, v21, v123                              // 000000003BC4: 0AF6F715
	v_mul_f32_e32 v124, v21, v124                              // 000000003BC8: 0AF8F915
	v_mul_f32_e32 v125, v21, v125                              // 000000003BCC: 0AFAFB15
	v_mul_f32_e32 v126, v21, v126                              // 000000003BD0: 0AFCFD15
	v_mul_f32_e32 v127, v21, v127                              // 000000003BD4: 0AFEFF15
	v_mul_f32_e32 v128, v21, v128                              // 000000003BD8: 0B010115
	v_mul_f32_e32 v129, v21, v129                              // 000000003BDC: 0B030315
	v_mul_f32_e32 v130, v21, v130                              // 000000003BE0: 0B050515
	v_mul_f32_e32 v131, v21, v131                              // 000000003BE4: 0B070715
	v_mul_f32_e32 v132, v21, v132                              // 000000003BE8: 0B090915
	v_mfma_f32_32x32x64_f8f6f4 v[44:59], a[112:119], a[40:47], v[44:59]// 000000003BEC: D3AE002C 1CB25170
	s_waitcnt lgkmcnt(0)                                       // 000000003BF4: BF8CC07F
	ds_read_b64_tr_b8 a[104:105], v13 offset:2048              // 000000003BF8: DBC40800 6800000D
	ds_read_b64_tr_b8 a[106:107], v14 offset:2048              // 000000003C00: DBC40800 6A00000E
	ds_read_b64_tr_b8 a[108:109], v13 offset:20480             // 000000003C08: DBC45000 6C00000D
	ds_read_b64_tr_b8 a[110:111], v14 offset:20480             // 000000003C10: DBC45000 6E00000E
	ds_read_b64_tr_b8 a[112:113], v15 offset:2048              // 000000003C18: DBC40800 7000000F
	ds_read_b64_tr_b8 a[114:115], v16 offset:2048              // 000000003C20: DBC40800 72000010
	ds_read_b64_tr_b8 a[116:117], v15 offset:20480             // 000000003C28: DBC45000 7400000F
	ds_read_b64_tr_b8 a[118:119], v16 offset:20480             // 000000003C30: DBC45000 76000010
	v_mul_f32_e32 v133, v21, v133                              // 000000003C38: 0B0B0B15
	v_mul_f32_e32 v134, v21, v134                              // 000000003C3C: 0B0D0D15
	v_mul_f32_e32 v135, v21, v135                              // 000000003C40: 0B0F0F15
	v_mul_f32_e32 v136, v21, v136                              // 000000003C44: 0B111115
	v_mul_f32_e32 v137, v21, v137                              // 000000003C48: 0B131315
	v_mul_f32_e32 v138, v21, v138                              // 000000003C4C: 0B151515
	v_mul_f32_e32 v139, v21, v139                              // 000000003C50: 0B171715
	v_mfma_f32_32x32x64_f8f6f4 v[44:59], a[120:127], a[48:55], v[44:59]// 000000003C54: D3AE002C 1CB26178
	buffer_load_dwordx4 v217, s[20:23], 0 offen offset:448 lds // 000000003C5C: E05D11C0 800500D9
	s_add_i32 m0, m0, 0x3c0                                    // 000000003C64: 817CFF7C 000003C0
	v_permlane32_swap_b32_e32 v60, v62                         // 000000003C6C: 7E78B53E
	v_permlane32_swap_b32_e32 v61, v63                         // 000000003C70: 7E7AB53F
	v_swap_b32 v61, v62                                        // 000000003C74: 7E7AA33E
	v_permlane32_swap_b32_e32 v64, v66                         // 000000003C78: 7E80B542
	v_permlane32_swap_b32_e32 v65, v67                         // 000000003C7C: 7E82B543
	v_swap_b32 v65, v66                                        // 000000003C80: 7E82A342
	v_mfma_f32_32x32x64_f8f6f4 v[44:59], a[128:135], a[56:63], v[44:59]// 000000003C84: D3AE002C 1CB27180
	ds_read_b64_tr_b8 a[120:121], v13 offset:3072              // 000000003C8C: DBC40C00 7800000D
	ds_read_b64_tr_b8 a[122:123], v14 offset:3072              // 000000003C94: DBC40C00 7A00000E
	ds_read_b64_tr_b8 a[124:125], v13 offset:21504             // 000000003C9C: DBC45400 7C00000D
	ds_read_b64_tr_b8 a[126:127], v14 offset:21504             // 000000003CA4: DBC45400 7E00000E
	ds_read_b64_tr_b8 a[128:129], v15 offset:3072              // 000000003CAC: DBC40C00 8000000F
	ds_read_b64_tr_b8 a[130:131], v16 offset:3072              // 000000003CB4: DBC40C00 82000010
	ds_read_b64_tr_b8 a[132:133], v15 offset:21504             // 000000003CBC: DBC45400 8400000F
	ds_read_b64_tr_b8 a[134:135], v16 offset:21504             // 000000003CC4: DBC45400 86000010
	v_mov_b32_e32 v36, v21                                     // 000000003CCC: 7E480315
	v_mov_b32_e32 v37, v21                                     // 000000003CD0: 7E4A0315
	v_pk_mul_f32 v[140:141], v[36:37], v[140:141]              // 000000003CD4: D3B1408C 18031924
	v_pk_mul_f32 v[142:143], v[36:37], v[142:143]              // 000000003CDC: D3B1408E 18031D24
	v_pk_mul_f32 v[144:145], v[36:37], v[144:145]              // 000000003CE4: D3B14090 18032124
	v_pk_mul_f32 v[146:147], v[36:37], v[146:147]              // 000000003CEC: D3B14092 18032524
	v_pk_mul_f32 v[148:149], v[36:37], v[148:149]              // 000000003CF4: D3B14094 18032924
	v_pk_mul_f32 v[150:151], v[36:37], v[150:151]              // 000000003CFC: D3B14096 18032D24
	v_pk_mul_f32 v[152:153], v[36:37], v[152:153]              // 000000003D04: D3B14098 18033124
	v_pk_mul_f32 v[154:155], v[36:37], v[154:155]              // 000000003D0C: D3B1409A 18033524
	v_pk_mul_f32 v[156:157], v[36:37], v[156:157]              // 000000003D14: D3B1409C 18033924
	v_pk_mul_f32 v[158:159], v[36:37], v[158:159]              // 000000003D1C: D3B1409E 18033D24
	v_pk_mul_f32 v[160:161], v[36:37], v[160:161]              // 000000003D24: D3B140A0 18034124
	v_pk_mul_f32 v[162:163], v[36:37], v[162:163]              // 000000003D2C: D3B140A2 18034524
	v_pk_mul_f32 v[164:165], v[36:37], v[164:165]              // 000000003D34: D3B140A4 18034924
	v_pk_mul_f32 v[166:167], v[36:37], v[166:167]              // 000000003D3C: D3B140A6 18034D24
	v_pk_mul_f32 v[168:169], v[36:37], v[168:169]              // 000000003D44: D3B140A8 18035124
	v_pk_mul_f32 v[170:171], v[36:37], v[170:171]              // 000000003D4C: D3B140AA 18035524
	v_pk_mul_f32 v[172:173], v[36:37], v[172:173]              // 000000003D54: D3B140AC 18035924
	v_pk_mul_f32 v[174:175], v[36:37], v[174:175]              // 000000003D5C: D3B140AE 18035D24
	v_pk_mul_f32 v[176:177], v[36:37], v[176:177]              // 000000003D64: D3B140B0 18036124
	v_pk_mul_f32 v[178:179], v[36:37], v[178:179]              // 000000003D6C: D3B140B2 18036524
	v_pk_mul_f32 v[180:181], v[36:37], v[180:181]              // 000000003D74: D3B140B4 18036924
	v_pk_mul_f32 v[182:183], v[36:37], v[182:183]              // 000000003D7C: D3B140B6 18036D24
	v_pk_mul_f32 v[184:185], v[36:37], v[184:185]              // 000000003D84: D3B140B8 18037124
	v_pk_mul_f32 v[186:187], v[36:37], v[186:187]              // 000000003D8C: D3B140BA 18037524
	v_pk_mul_f32 v[188:189], v[36:37], v[188:189]              // 000000003D94: D3B140BC 18037924
	v_pk_mul_f32 v[190:191], v[36:37], v[190:191]              // 000000003D9C: D3B140BE 18037D24
	v_pk_mul_f32 v[192:193], v[36:37], v[192:193]              // 000000003DA4: D3B140C0 18038124
	v_pk_mul_f32 v[194:195], v[36:37], v[194:195]              // 000000003DAC: D3B140C2 18038524
	v_pk_mul_f32 v[196:197], v[36:37], v[196:197]              // 000000003DB4: D3B140C4 18038924
	v_pk_mul_f32 v[198:199], v[36:37], v[198:199]              // 000000003DBC: D3B140C6 18038D24
	v_pk_mul_f32 v[200:201], v[36:37], v[200:201]              // 000000003DC4: D3B140C8 18039124
	v_pk_mul_f32 v[202:203], v[36:37], v[202:203]              // 000000003DCC: D3B140CA 18039524
	v_mfma_f32_32x32x64_f8f6f4 v[44:59], a[136:143], a[64:71], v[44:59]// 000000003DD4: D3AE002C 1CB28188
	buffer_load_dwordx4 v217, s[20:23], 0 offen offset:512 lds // 000000003DDC: E05D1200 800500D9
	s_add_i32 m0, m0, 0x3c0                                    // 000000003DE4: 817CFF7C 000003C0
	s_addk_i32 s70, 0x1                                        // 000000003DEC: B7460001
	s_cmp_lt_i32 s70, s71                                      // 000000003DF0: BF044746
	s_cbranch_scc0 label_2F98                                  // 000000003DF4: BF840568
	v_mul_u32_u24_e64 v217, v31, s68                           // 000000003DF8: D10800D9 0000891F
	v_add_u32_e32 v217, v217, v1                               // 000000003E00: 69B203D9
	s_waitcnt vmcnt(10)                                        // 000000003E04: BF8C0F7A
	s_barrier                                                  // 000000003E08: BF8A0000
	s_waitcnt lgkmcnt(8)                                       // 000000003E0C: BF8CC87F
	v_mfma_f32_32x32x64_f8f6f4 v[76:91], a[72:79], v[60:67], v[76:91]// 000000003E10: D3AE004C 0D327948
	ds_read_b128 a[72:75], v22                                 // 000000003E18: DBFE0000 48000016
	ds_read_b128 a[76:79], v23                                 // 000000003E20: DBFE0000 4C000017
	v_mov_b32_e32 v213, v44                                    // 000000003E28: 7FAA032C
	v_max3_f32 v213, v44, v45, v213                            // 000000003E2C: D1D300D5 07565B2C
	v_max3_f32 v213, v46, v47, v213                            // 000000003E34: D1D300D5 07565F2E
	v_max3_f32 v213, v48, v49, v213                            // 000000003E3C: D1D300D5 07566330
	v_max3_f32 v213, v50, v51, v213                            // 000000003E44: D1D300D5 07566732
	v_max3_f32 v213, v52, v53, v213                            // 000000003E4C: D1D300D5 07566B34
	v_max3_f32 v213, v54, v55, v213                            // 000000003E54: D1D300D5 07566F36
	v_max3_f32 v213, v56, v57, v213                            // 000000003E5C: D1D300D5 07567338
	v_max3_f32 v213, v58, v59, v213                            // 000000003E64: D1D300D5 0756773A
	v_mov_b32_e32 v35, v213                                    // 000000003E6C: 7E4603D5
	v_mov_b32_e32 v36, v213                                    // 000000003E70: 7E4803D5
	s_nop 0                                                    // 000000003E74: BF800000
	v_mfma_f32_32x32x64_f8f6f4 v[92:107], a[80:87], v[60:67], v[92:107]// 000000003E78: D3AE005C 0D727950
	v_permlane32_swap_b32_e32 v35, v36                         // 000000003E80: 7E46B524
	v_max3_f32 v213, v35, v36, v213                            // 000000003E84: D1D300D5 07564923
	ds_write_b32 v41, v213                                     // 000000003E8C: D81A0000 0000D529
	s_mov_b32 s56, 0x14000                                     // 000000003E94: BEB800FF 00014000
	s_mul_i32 s57, s7, 0x2400                                  // 000000003E9C: 9239FF07 00002400
	s_add_u32 m0, s56, s57                                     // 000000003EA4: 807C3938
	buffer_load_dwordx4 v217, s[20:23], 0 offen lds            // 000000003EA8: E05D1000 800500D9
	s_add_i32 m0, m0, 0x3c0                                    // 000000003EB0: 817CFF7C 000003C0
	buffer_load_dwordx4 v217, s[20:23], 0 offen offset:64 lds  // 000000003EB8: E05D1040 800500D9
	s_add_i32 m0, m0, 0x3c0                                    // 000000003EC0: 817CFF7C 000003C0
	s_waitcnt lgkmcnt(0)                                       // 000000003EC8: BF8CC07F
	s_barrier                                                  // 000000003ECC: BF8A0000
	v_mfma_f32_32x32x64_f8f6f4 v[108:123], a[88:95], v[60:67], v[108:123]// 000000003ED0: D3AE006C 0DB27958
	ds_read_b32 v35, v40                                       // 000000003ED8: D86C0000 23000028
	ds_read_b32 v36, v40 offset:256                            // 000000003EE0: D86C0100 24000028
	s_waitcnt lgkmcnt(0)                                       // 000000003EE8: BF8CC07F
	v_max3_f32 v213, v35, v36, v213                            // 000000003EEC: D1D300D5 07564923
	v_mov_b32_e32 v35, 0xff800000                              // 000000003EF4: 7E4602FF FF800000
	v_cmp_eq_u32_e64 s[36:37], v35, v2                         // 000000003EFC: D0CA0024 00020523
	v_max_f32_e32 v216, v213, v2                               // 000000003F04: 17B005D5
	v_sub_f32_e32 v21, v2, v216                                // 000000003F08: 042BB102
	v_cndmask_b32_e64 v21, v21, 0, s[36:37]                    // 000000003F0C: D1000015 00910115
	v_mfma_f32_32x32x64_f8f6f4 v[124:139], a[96:103], v[60:67], v[124:139]// 000000003F14: D3AE007C 0DF27960
	buffer_load_dwordx4 v217, s[20:23], 0 offen offset:128 lds // 000000003F1C: E05D1080 800500D9
	s_add_i32 m0, m0, 0x3c0                                    // 000000003F24: 817CFF7C 000003C0
	v_mov_b32_e32 v2, v216                                     // 000000003F2C: 7E0403D8
	v_mul_f32_e32 v212, s5, v216                               // 000000003F30: 0BA9B005
	v_mul_f32_e32 v21, s5, v21                                 // 000000003F34: 0A2A2A05
	v_exp_f32_e32 v21, v21                                     // 000000003F38: 7E2A4115
	v_fma_f32 v44, v44, s5, -v212                              // 000000003F3C: D1CB002C 87500B2C
	v_fma_f32 v45, v45, s5, -v212                              // 000000003F44: D1CB002D 87500B2D
	v_fma_f32 v46, v46, s5, -v212                              // 000000003F4C: D1CB002E 87500B2E
	v_fma_f32 v47, v47, s5, -v212                              // 000000003F54: D1CB002F 87500B2F
	v_fma_f32 v48, v48, s5, -v212                              // 000000003F5C: D1CB0030 87500B30
	v_fma_f32 v49, v49, s5, -v212                              // 000000003F64: D1CB0031 87500B31
	v_fma_f32 v50, v50, s5, -v212                              // 000000003F6C: D1CB0032 87500B32
	v_fma_f32 v51, v51, s5, -v212                              // 000000003F74: D1CB0033 87500B33
	v_fma_f32 v52, v52, s5, -v212                              // 000000003F7C: D1CB0034 87500B34
	v_mfma_f32_32x32x64_f8f6f4 v[140:155], a[104:111], v[60:67], v[140:155]// 000000003F84: D3AE008C 0E327968
	ds_read_b128 a[80:83], v22 offset:1024                     // 000000003F8C: DBFE0400 50000016
	ds_read_b128 a[84:87], v23 offset:1024                     // 000000003F94: DBFE0400 54000017
	ds_read_b128 a[88:91], v22 offset:2048                     // 000000003F9C: DBFE0800 58000016
	ds_read_b128 a[92:95], v23 offset:2048                     // 000000003FA4: DBFE0800 5C000017
	ds_read_b128 a[96:99], v22 offset:3072                     // 000000003FAC: DBFE0C00 60000016
	ds_read_b128 a[100:103], v23 offset:3072                   // 000000003FB4: DBFE0C00 64000017
	v_fma_f32 v53, v53, s5, -v212                              // 000000003FBC: D1CB0035 87500B35
	v_fma_f32 v54, v54, s5, -v212                              // 000000003FC4: D1CB0036 87500B36
	v_fma_f32 v55, v55, s5, -v212                              // 000000003FCC: D1CB0037 87500B37
	v_fma_f32 v56, v56, s5, -v212                              // 000000003FD4: D1CB0038 87500B38
	v_fma_f32 v57, v57, s5, -v212                              // 000000003FDC: D1CB0039 87500B39
	v_fma_f32 v58, v58, s5, -v212                              // 000000003FE4: D1CB003A 87500B3A
	v_fma_f32 v59, v59, s5, -v212                              // 000000003FEC: D1CB003B 87500B3B
	v_exp_f32_e32 v44, v44                                     // 000000003FF4: 7E58412C
	v_exp_f32_e32 v45, v45                                     // 000000003FF8: 7E5A412D
	v_mfma_f32_32x32x64_f8f6f4 v[156:171], a[112:119], v[60:67], v[156:171]// 000000003FFC: D3AE009C 0E727970
	buffer_load_dwordx4 v217, s[20:23], 0 offen offset:192 lds // 000000004004: E05D10C0 800500D9
	s_add_i32 m0, m0, 0x3c0                                    // 00000000400C: 817CFF7C 000003C0
	v_exp_f32_e32 v46, v46                                     // 000000004014: 7E5C412E
	v_exp_f32_e32 v47, v47                                     // 000000004018: 7E5E412F
	v_exp_f32_e32 v48, v48                                     // 00000000401C: 7E604130
	v_exp_f32_e32 v49, v49                                     // 000000004020: 7E624131
	v_exp_f32_e32 v50, v50                                     // 000000004024: 7E644132
	v_exp_f32_e32 v51, v51                                     // 000000004028: 7E664133
	v_exp_f32_e32 v52, v52                                     // 00000000402C: 7E684134
	v_mfma_f32_32x32x64_f8f6f4 v[172:187], a[120:127], v[60:67], v[172:187]// 000000004030: D3AE00AC 0EB27978
	ds_read_b128 a[104:107], v22 offset:4096                   // 000000004038: DBFE1000 68000016
	ds_read_b128 a[108:111], v23 offset:4096                   // 000000004040: DBFE1000 6C000017
	ds_read_b128 a[112:115], v22 offset:5120                   // 000000004048: DBFE1400 70000016
	ds_read_b128 a[116:119], v23 offset:5120                   // 000000004050: DBFE1400 74000017
	ds_read_b128 a[120:123], v22 offset:6144                   // 000000004058: DBFE1800 78000016
	ds_read_b128 a[124:127], v23 offset:6144                   // 000000004060: DBFE1800 7C000017
	v_exp_f32_e32 v53, v53                                     // 000000004068: 7E6A4135
	v_exp_f32_e32 v54, v54                                     // 00000000406C: 7E6C4136
	v_exp_f32_e32 v55, v55                                     // 000000004070: 7E6E4137
	v_exp_f32_e32 v56, v56                                     // 000000004074: 7E704138
	v_exp_f32_e32 v57, v57                                     // 000000004078: 7E724139
	v_mfma_f32_32x32x64_f8f6f4 v[188:203], a[128:135], v[60:67], v[188:203]// 00000000407C: D3AE00BC 0EF27980
	ds_read_b128 a[128:131], v22 offset:7168                   // 000000004084: DBFE1C00 80000016
	ds_read_b128 a[132:135], v23 offset:7168                   // 00000000408C: DBFE1C00 84000017
	ds_read_b128 a[136:139], v22 offset:8192                   // 000000004094: DBFE2000 88000016
	ds_read_b128 a[140:143], v23 offset:8192                   // 00000000409C: DBFE2000 8C000017
	v_exp_f32_e32 v58, v58                                     // 0000000040A4: 7E74413A
	v_exp_f32_e32 v59, v59                                     // 0000000040A8: 7E76413B
	v_mul_f32_e32 v4, v21, v4                                  // 0000000040AC: 0A080915
	v_mov_b32_e32 v35, v44                                     // 0000000040B0: 7E46032C
	v_add_f32_e32 v35, v45, v35                                // 0000000040B4: 0246472D
	v_add_f32_e32 v35, v46, v35                                // 0000000040B8: 0246472E
	v_add_f32_e32 v35, v47, v35                                // 0000000040BC: 0246472F
	v_add_f32_e32 v35, v48, v35                                // 0000000040C0: 02464730
	v_add_f32_e32 v35, v49, v35                                // 0000000040C4: 02464731
	v_add_f32_e32 v35, v50, v35                                // 0000000040C8: 02464732
	v_add_f32_e32 v35, v51, v35                                // 0000000040CC: 02464733
	v_add_f32_e32 v35, v52, v35                                // 0000000040D0: 02464734
	v_add_f32_e32 v35, v53, v35                                // 0000000040D4: 02464735
	v_add_f32_e32 v35, v54, v35                                // 0000000040D8: 02464736
	v_add_f32_e32 v35, v55, v35                                // 0000000040DC: 02464737
	v_add_f32_e32 v35, v56, v35                                // 0000000040E0: 02464738
	v_add_f32_e32 v35, v57, v35                                // 0000000040E4: 02464739
	v_add_f32_e32 v35, v58, v35                                // 0000000040E8: 0246473A
	v_add_f32_e32 v35, v59, v35                                // 0000000040EC: 0246473B
	v_add_f32_e32 v4, v35, v4                                  // 0000000040F0: 02080923
	v_cvt_pk_fp8_f32 v44, v44, v45                             // 0000000040F4: D2A2002C 00025B2C
	v_cvt_pk_fp8_f32 v44, v46, v47 op_sel:[0,0,1]              // 0000000040FC: D2A2402C 00025F2E
	v_cvt_pk_fp8_f32 v45, v48, v49                             // 000000004104: D2A2002D 00026330
	v_cvt_pk_fp8_f32 v45, v50, v51 op_sel:[0,0,1]              // 00000000410C: D2A2402D 00026732
	v_cvt_pk_fp8_f32 v46, v52, v53                             // 000000004114: D2A2002E 00026B34
	v_cvt_pk_fp8_f32 v46, v54, v55 op_sel:[0,0,1]              // 00000000411C: D2A2402E 00026F36
	v_cvt_pk_fp8_f32 v47, v56, v57                             // 000000004124: D2A2002F 00027338
	v_cvt_pk_fp8_f32 v47, v58, v59 op_sel:[0,0,1]              // 00000000412C: D2A2402F 0002773A
	s_waitcnt lgkmcnt(8)                                       // 000000004134: BF8CC87F
	v_mfma_f32_32x32x64_f8f6f4 v[60:75], a[72:79], a[0:7], 0   // 000000004138: D3AE003C 1A020148
	ds_write_b128 v43, v[44:47] offset:1024                    // 000000004140: D9BE0400 00002C2B
	buffer_load_dword v33, v34, s[24:27], 0 offen              // 000000004148: E0501000 80062122
	buffer_load_dwordx4 v217, s[20:23], 0 offen offset:256 lds // 000000004150: E05D1100 800500D9
	s_add_i32 m0, m0, 0x3c0                                    // 000000004158: 817CFF7C 000003C0
	v_mul_f32_e32 v76, v21, v76                                // 000000004160: 0A989915
	v_mul_f32_e32 v77, v21, v77                                // 000000004164: 0A9A9B15
	v_mul_f32_e32 v78, v21, v78                                // 000000004168: 0A9C9D15
	v_mul_f32_e32 v79, v21, v79                                // 00000000416C: 0A9E9F15
	v_mul_f32_e32 v80, v21, v80                                // 000000004170: 0AA0A115
	v_mul_f32_e32 v81, v21, v81                                // 000000004174: 0AA2A315
	v_mul_f32_e32 v82, v21, v82                                // 000000004178: 0AA4A515
	v_mul_f32_e32 v83, v21, v83                                // 00000000417C: 0AA6A715
	v_mul_f32_e32 v84, v21, v84                                // 000000004180: 0AA8A915
	v_mfma_f32_32x32x64_f8f6f4 v[60:75], a[80:87], a[8:15], v[60:75]// 000000004184: D3AE003C 1CF21150
	ds_read_b64_tr_b8 a[72:73], v17                            // 00000000418C: DBC40000 48000011
	ds_read_b64_tr_b8 a[74:75], v18                            // 000000004194: DBC40000 4A000012
	ds_read_b64_tr_b8 a[76:77], v17 offset:18432               // 00000000419C: DBC44800 4C000011
	ds_read_b64_tr_b8 a[78:79], v18 offset:18432               // 0000000041A4: DBC44800 4E000012
	ds_read_b64_tr_b8 a[80:81], v19                            // 0000000041AC: DBC40000 50000013
	ds_read_b64_tr_b8 a[82:83], v20                            // 0000000041B4: DBC40000 52000014
	ds_read_b64_tr_b8 a[84:85], v19 offset:18432               // 0000000041BC: DBC44800 54000013
	ds_read_b64_tr_b8 a[86:87], v20 offset:18432               // 0000000041C4: DBC44800 56000014
	v_mul_f32_e32 v85, v21, v85                                // 0000000041CC: 0AAAAB15
	v_mul_f32_e32 v86, v21, v86                                // 0000000041D0: 0AACAD15
	v_mul_f32_e32 v87, v21, v87                                // 0000000041D4: 0AAEAF15
	v_mul_f32_e32 v88, v21, v88                                // 0000000041D8: 0AB0B115
	v_mul_f32_e32 v89, v21, v89                                // 0000000041DC: 0AB2B315
	v_mul_f32_e32 v90, v21, v90                                // 0000000041E0: 0AB4B515
	v_mul_f32_e32 v91, v21, v91                                // 0000000041E4: 0AB6B715
	v_mul_f32_e32 v92, v21, v92                                // 0000000041E8: 0AB8B915
	v_mul_f32_e32 v93, v21, v93                                // 0000000041EC: 0ABABB15
	v_mul_f32_e32 v94, v21, v94                                // 0000000041F0: 0ABCBD15
	v_mul_f32_e32 v95, v21, v95                                // 0000000041F4: 0ABEBF15
	v_mul_f32_e32 v96, v21, v96                                // 0000000041F8: 0AC0C115
	s_waitcnt lgkmcnt(0)                                       // 0000000041FC: BF8CC07F
	s_barrier                                                  // 000000004200: BF8A0000
	v_mfma_f32_32x32x64_f8f6f4 v[60:75], a[88:95], a[16:23], v[60:75]// 000000004204: D3AE003C 1CF22158
	ds_read_b128 v[44:47], v42 offset:1024                     // 00000000420C: D9FE0400 2C00002A
	ds_read_b128 v[48:51], v42 offset:2048                     // 000000004214: D9FE0800 3000002A
	buffer_load_dwordx4 v217, s[20:23], 0 offen offset:320 lds // 00000000421C: E05D1140 800500D9
	s_add_i32 m0, m0, 0x3c0                                    // 000000004224: 817CFF7C 000003C0
	v_mul_f32_e32 v97, v21, v97                                // 00000000422C: 0AC2C315
	v_mul_f32_e32 v98, v21, v98                                // 000000004230: 0AC4C515
	v_mul_f32_e32 v99, v21, v99                                // 000000004234: 0AC6C715
	v_mul_f32_e32 v100, v21, v100                              // 000000004238: 0AC8C915
	v_mul_f32_e32 v101, v21, v101                              // 00000000423C: 0ACACB15
	v_mul_f32_e32 v102, v21, v102                              // 000000004240: 0ACCCD15
	v_mul_f32_e32 v103, v21, v103                              // 000000004244: 0ACECF15
	v_mul_f32_e32 v104, v21, v104                              // 000000004248: 0AD0D115
	v_mul_f32_e32 v105, v21, v105                              // 00000000424C: 0AD2D315
	v_mul_f32_e32 v106, v21, v106                              // 000000004250: 0AD4D515
	v_mul_f32_e32 v107, v21, v107                              // 000000004254: 0AD6D715
	v_mul_f32_e32 v108, v21, v108                              // 000000004258: 0AD8D915
	v_add_u32_e32 v34, s73, v34                                // 00000000425C: 68444449
	v_mfma_f32_32x32x64_f8f6f4 v[60:75], a[96:103], a[24:31], v[60:75]// 000000004260: D3AE003C 1CF23160
	ds_read_b64_tr_b8 a[88:89], v17 offset:1024                // 000000004268: DBC40400 58000011
	ds_read_b64_tr_b8 a[90:91], v18 offset:1024                // 000000004270: DBC40400 5A000012
	ds_read_b64_tr_b8 a[92:93], v17 offset:19456               // 000000004278: DBC44C00 5C000011
	ds_read_b64_tr_b8 a[94:95], v18 offset:19456               // 000000004280: DBC44C00 5E000012
	ds_read_b64_tr_b8 a[96:97], v19 offset:1024                // 000000004288: DBC40400 60000013
	ds_read_b64_tr_b8 a[98:99], v20 offset:1024                // 000000004290: DBC40400 62000014
	ds_read_b64_tr_b8 a[100:101], v19 offset:19456             // 000000004298: DBC44C00 64000013
	ds_read_b64_tr_b8 a[102:103], v20 offset:19456             // 0000000042A0: DBC44C00 66000014
	v_mul_f32_e32 v109, v21, v109                              // 0000000042A8: 0ADADB15
	v_mul_f32_e32 v110, v21, v110                              // 0000000042AC: 0ADCDD15
	v_mul_f32_e32 v111, v21, v111                              // 0000000042B0: 0ADEDF15
	v_mul_f32_e32 v112, v21, v112                              // 0000000042B4: 0AE0E115
	v_mul_f32_e32 v113, v21, v113                              // 0000000042B8: 0AE2E315
	v_mul_f32_e32 v114, v21, v114                              // 0000000042BC: 0AE4E515
	v_mul_f32_e32 v115, v21, v115                              // 0000000042C0: 0AE6E715
	v_mul_f32_e32 v116, v21, v116                              // 0000000042C4: 0AE8E915
	v_mul_f32_e32 v117, v21, v117                              // 0000000042C8: 0AEAEB15
	v_mul_f32_e32 v118, v21, v118                              // 0000000042CC: 0AECED15
	v_mul_f32_e32 v119, v21, v119                              // 0000000042D0: 0AEEEF15
	v_mul_f32_e32 v120, v21, v120                              // 0000000042D4: 0AF0F115
	v_mfma_f32_32x32x64_f8f6f4 v[60:75], a[104:111], a[32:39], v[60:75]// 0000000042D8: D3AE003C 1CF24168
	buffer_load_dwordx4 v217, s[20:23], 0 offen offset:384 lds // 0000000042E0: E05D1180 800500D9
	s_add_i32 m0, m0, 0x3c0                                    // 0000000042E8: 817CFF7C 000003C0
	v_mul_f32_e32 v121, v21, v121                              // 0000000042F0: 0AF2F315
	v_mul_f32_e32 v122, v21, v122                              // 0000000042F4: 0AF4F515
	v_mul_f32_e32 v123, v21, v123                              // 0000000042F8: 0AF6F715
	v_mul_f32_e32 v124, v21, v124                              // 0000000042FC: 0AF8F915
	v_mul_f32_e32 v125, v21, v125                              // 000000004300: 0AFAFB15
	v_mul_f32_e32 v126, v21, v126                              // 000000004304: 0AFCFD15
	v_mul_f32_e32 v127, v21, v127                              // 000000004308: 0AFEFF15
	v_mul_f32_e32 v128, v21, v128                              // 00000000430C: 0B010115
	v_mul_f32_e32 v129, v21, v129                              // 000000004310: 0B030315
	v_mul_f32_e32 v130, v21, v130                              // 000000004314: 0B050515
	v_mul_f32_e32 v131, v21, v131                              // 000000004318: 0B070715
	v_mul_f32_e32 v132, v21, v132                              // 00000000431C: 0B090915
	v_mfma_f32_32x32x64_f8f6f4 v[60:75], a[112:119], a[40:47], v[60:75]// 000000004320: D3AE003C 1CF25170
	s_waitcnt lgkmcnt(0)                                       // 000000004328: BF8CC07F
	ds_read_b64_tr_b8 a[104:105], v17 offset:2048              // 00000000432C: DBC40800 68000011
	ds_read_b64_tr_b8 a[106:107], v18 offset:2048              // 000000004334: DBC40800 6A000012
	ds_read_b64_tr_b8 a[108:109], v17 offset:20480             // 00000000433C: DBC45000 6C000011
	ds_read_b64_tr_b8 a[110:111], v18 offset:20480             // 000000004344: DBC45000 6E000012
	ds_read_b64_tr_b8 a[112:113], v19 offset:2048              // 00000000434C: DBC40800 70000013
	ds_read_b64_tr_b8 a[114:115], v20 offset:2048              // 000000004354: DBC40800 72000014
	ds_read_b64_tr_b8 a[116:117], v19 offset:20480             // 00000000435C: DBC45000 74000013
	ds_read_b64_tr_b8 a[118:119], v20 offset:20480             // 000000004364: DBC45000 76000014
	v_mul_f32_e32 v133, v21, v133                              // 00000000436C: 0B0B0B15
	v_mul_f32_e32 v134, v21, v134                              // 000000004370: 0B0D0D15
	v_mul_f32_e32 v135, v21, v135                              // 000000004374: 0B0F0F15
	v_mul_f32_e32 v136, v21, v136                              // 000000004378: 0B111115
	v_mul_f32_e32 v137, v21, v137                              // 00000000437C: 0B131315
	v_mul_f32_e32 v138, v21, v138                              // 000000004380: 0B151515
	v_mul_f32_e32 v139, v21, v139                              // 000000004384: 0B171715
	v_mfma_f32_32x32x64_f8f6f4 v[60:75], a[120:127], a[48:55], v[60:75]// 000000004388: D3AE003C 1CF26178
	buffer_load_dwordx4 v217, s[20:23], 0 offen offset:448 lds // 000000004390: E05D11C0 800500D9
	s_add_i32 m0, m0, 0x3c0                                    // 000000004398: 817CFF7C 000003C0
	v_permlane32_swap_b32_e32 v44, v46                         // 0000000043A0: 7E58B52E
	v_permlane32_swap_b32_e32 v45, v47                         // 0000000043A4: 7E5AB52F
	v_swap_b32 v45, v46                                        // 0000000043A8: 7E5AA32E
	v_permlane32_swap_b32_e32 v48, v50                         // 0000000043AC: 7E60B532
	v_permlane32_swap_b32_e32 v49, v51                         // 0000000043B0: 7E62B533
	v_swap_b32 v49, v50                                        // 0000000043B4: 7E62A332
	v_mfma_f32_32x32x64_f8f6f4 v[60:75], a[128:135], a[56:63], v[60:75]// 0000000043B8: D3AE003C 1CF27180
	ds_read_b64_tr_b8 a[120:121], v17 offset:3072              // 0000000043C0: DBC40C00 78000011
	ds_read_b64_tr_b8 a[122:123], v18 offset:3072              // 0000000043C8: DBC40C00 7A000012
	ds_read_b64_tr_b8 a[124:125], v17 offset:21504             // 0000000043D0: DBC45400 7C000011
	ds_read_b64_tr_b8 a[126:127], v18 offset:21504             // 0000000043D8: DBC45400 7E000012
	ds_read_b64_tr_b8 a[128:129], v19 offset:3072              // 0000000043E0: DBC40C00 80000013
	ds_read_b64_tr_b8 a[130:131], v20 offset:3072              // 0000000043E8: DBC40C00 82000014
	ds_read_b64_tr_b8 a[132:133], v19 offset:21504             // 0000000043F0: DBC45400 84000013
	ds_read_b64_tr_b8 a[134:135], v20 offset:21504             // 0000000043F8: DBC45400 86000014
	v_mov_b32_e32 v36, v21                                     // 000000004400: 7E480315
	v_mov_b32_e32 v37, v21                                     // 000000004404: 7E4A0315
	v_pk_mul_f32 v[140:141], v[36:37], v[140:141]              // 000000004408: D3B1408C 18031924
	v_pk_mul_f32 v[142:143], v[36:37], v[142:143]              // 000000004410: D3B1408E 18031D24
	v_pk_mul_f32 v[144:145], v[36:37], v[144:145]              // 000000004418: D3B14090 18032124
	v_pk_mul_f32 v[146:147], v[36:37], v[146:147]              // 000000004420: D3B14092 18032524
	v_pk_mul_f32 v[148:149], v[36:37], v[148:149]              // 000000004428: D3B14094 18032924
	v_pk_mul_f32 v[150:151], v[36:37], v[150:151]              // 000000004430: D3B14096 18032D24
	v_pk_mul_f32 v[152:153], v[36:37], v[152:153]              // 000000004438: D3B14098 18033124
	v_pk_mul_f32 v[154:155], v[36:37], v[154:155]              // 000000004440: D3B1409A 18033524
	v_pk_mul_f32 v[156:157], v[36:37], v[156:157]              // 000000004448: D3B1409C 18033924
	v_pk_mul_f32 v[158:159], v[36:37], v[158:159]              // 000000004450: D3B1409E 18033D24
	v_pk_mul_f32 v[160:161], v[36:37], v[160:161]              // 000000004458: D3B140A0 18034124
	v_pk_mul_f32 v[162:163], v[36:37], v[162:163]              // 000000004460: D3B140A2 18034524
	v_pk_mul_f32 v[164:165], v[36:37], v[164:165]              // 000000004468: D3B140A4 18034924
	v_pk_mul_f32 v[166:167], v[36:37], v[166:167]              // 000000004470: D3B140A6 18034D24
	v_pk_mul_f32 v[168:169], v[36:37], v[168:169]              // 000000004478: D3B140A8 18035124
	v_pk_mul_f32 v[170:171], v[36:37], v[170:171]              // 000000004480: D3B140AA 18035524
	v_pk_mul_f32 v[172:173], v[36:37], v[172:173]              // 000000004488: D3B140AC 18035924
	v_pk_mul_f32 v[174:175], v[36:37], v[174:175]              // 000000004490: D3B140AE 18035D24
	v_pk_mul_f32 v[176:177], v[36:37], v[176:177]              // 000000004498: D3B140B0 18036124
	v_pk_mul_f32 v[178:179], v[36:37], v[178:179]              // 0000000044A0: D3B140B2 18036524
	v_pk_mul_f32 v[180:181], v[36:37], v[180:181]              // 0000000044A8: D3B140B4 18036924
	v_pk_mul_f32 v[182:183], v[36:37], v[182:183]              // 0000000044B0: D3B140B6 18036D24
	v_pk_mul_f32 v[184:185], v[36:37], v[184:185]              // 0000000044B8: D3B140B8 18037124
	v_pk_mul_f32 v[186:187], v[36:37], v[186:187]              // 0000000044C0: D3B140BA 18037524
	v_pk_mul_f32 v[188:189], v[36:37], v[188:189]              // 0000000044C8: D3B140BC 18037924
	v_pk_mul_f32 v[190:191], v[36:37], v[190:191]              // 0000000044D0: D3B140BE 18037D24
	v_pk_mul_f32 v[192:193], v[36:37], v[192:193]              // 0000000044D8: D3B140C0 18038124
	v_pk_mul_f32 v[194:195], v[36:37], v[194:195]              // 0000000044E0: D3B140C2 18038524
	v_pk_mul_f32 v[196:197], v[36:37], v[196:197]              // 0000000044E8: D3B140C4 18038924
	v_pk_mul_f32 v[198:199], v[36:37], v[198:199]              // 0000000044F0: D3B140C6 18038D24
	v_pk_mul_f32 v[200:201], v[36:37], v[200:201]              // 0000000044F8: D3B140C8 18039124
	v_pk_mul_f32 v[202:203], v[36:37], v[202:203]              // 000000004500: D3B140CA 18039524
	v_mfma_f32_32x32x64_f8f6f4 v[60:75], a[136:143], a[64:71], v[60:75]// 000000004508: D3AE003C 1CF28188
	buffer_load_dwordx4 v217, s[20:23], 0 offen offset:512 lds // 000000004510: E05D1200 800500D9
	s_add_i32 m0, m0, 0x3c0                                    // 000000004518: 817CFF7C 000003C0
	s_addk_i32 s70, 0x1                                        // 000000004520: B7460001
	s_cmp_lt_i32 s70, s71                                      // 000000004524: BF044746
	s_cbranch_scc0 label_2F98                                  // 000000004528: BF84039B
	v_mul_u32_u24_e64 v217, v32, s68                           // 00000000452C: D10800D9 00008920
	v_add_u32_e32 v217, v217, v1                               // 000000004534: 69B203D9
	s_waitcnt vmcnt(10)                                        // 000000004538: BF8C0F7A
	s_barrier                                                  // 00000000453C: BF8A0000
	s_waitcnt lgkmcnt(8)                                       // 000000004540: BF8CC87F
	v_mfma_f32_32x32x64_f8f6f4 v[76:91], a[72:79], v[44:51], v[76:91]// 000000004544: D3AE004C 0D325948
	ds_read_b128 a[72:75], v24                                 // 00000000454C: DBFE0000 48000018
	ds_read_b128 a[76:79], v25                                 // 000000004554: DBFE0000 4C000019
	v_mov_b32_e32 v213, v60                                    // 00000000455C: 7FAA033C
	v_max3_f32 v213, v60, v61, v213                            // 000000004560: D1D300D5 07567B3C
	v_max3_f32 v213, v62, v63, v213                            // 000000004568: D1D300D5 07567F3E
	v_max3_f32 v213, v64, v65, v213                            // 000000004570: D1D300D5 07568340
	v_max3_f32 v213, v66, v67, v213                            // 000000004578: D1D300D5 07568742
	v_max3_f32 v213, v68, v69, v213                            // 000000004580: D1D300D5 07568B44
	v_max3_f32 v213, v70, v71, v213                            // 000000004588: D1D300D5 07568F46
	v_max3_f32 v213, v72, v73, v213                            // 000000004590: D1D300D5 07569348
	v_max3_f32 v213, v74, v75, v213                            // 000000004598: D1D300D5 0756974A
	v_mov_b32_e32 v35, v213                                    // 0000000045A0: 7E4603D5
	v_mov_b32_e32 v36, v213                                    // 0000000045A4: 7E4803D5
	s_nop 0                                                    // 0000000045A8: BF800000
	v_mfma_f32_32x32x64_f8f6f4 v[92:107], a[80:87], v[44:51], v[92:107]// 0000000045AC: D3AE005C 0D725950
	v_permlane32_swap_b32_e32 v35, v36                         // 0000000045B4: 7E46B524
	v_max3_f32 v213, v35, v36, v213                            // 0000000045B8: D1D300D5 07564923
	ds_write_b32 v41, v213                                     // 0000000045C0: D81A0000 0000D529
	s_mov_b32 s56, 0x1d000                                     // 0000000045C8: BEB800FF 0001D000
	s_mul_i32 s57, s7, 0x2400                                  // 0000000045D0: 9239FF07 00002400
	s_add_u32 m0, s56, s57                                     // 0000000045D8: 807C3938
	buffer_load_dwordx4 v217, s[20:23], 0 offen lds            // 0000000045DC: E05D1000 800500D9
	s_add_i32 m0, m0, 0x3c0                                    // 0000000045E4: 817CFF7C 000003C0
	buffer_load_dwordx4 v217, s[20:23], 0 offen offset:64 lds  // 0000000045EC: E05D1040 800500D9
	s_add_i32 m0, m0, 0x3c0                                    // 0000000045F4: 817CFF7C 000003C0
	s_waitcnt lgkmcnt(0)                                       // 0000000045FC: BF8CC07F
	s_barrier                                                  // 000000004600: BF8A0000
	v_mfma_f32_32x32x64_f8f6f4 v[108:123], a[88:95], v[44:51], v[108:123]// 000000004604: D3AE006C 0DB25958
	ds_read_b32 v35, v40                                       // 00000000460C: D86C0000 23000028
	ds_read_b32 v36, v40 offset:256                            // 000000004614: D86C0100 24000028
	s_waitcnt lgkmcnt(0)                                       // 00000000461C: BF8CC07F
	v_max3_f32 v213, v35, v36, v213                            // 000000004620: D1D300D5 07564923
	v_mov_b32_e32 v35, 0xff800000                              // 000000004628: 7E4602FF FF800000
	v_cmp_eq_u32_e64 s[36:37], v35, v2                         // 000000004630: D0CA0024 00020523
	v_max_f32_e32 v216, v213, v2                               // 000000004638: 17B005D5
	v_sub_f32_e32 v21, v2, v216                                // 00000000463C: 042BB102
	v_cndmask_b32_e64 v21, v21, 0, s[36:37]                    // 000000004640: D1000015 00910115
	v_mfma_f32_32x32x64_f8f6f4 v[124:139], a[96:103], v[44:51], v[124:139]// 000000004648: D3AE007C 0DF25960
	buffer_load_dwordx4 v217, s[20:23], 0 offen offset:128 lds // 000000004650: E05D1080 800500D9
	s_add_i32 m0, m0, 0x3c0                                    // 000000004658: 817CFF7C 000003C0
	v_mov_b32_e32 v2, v216                                     // 000000004660: 7E0403D8
	v_mul_f32_e32 v212, s5, v216                               // 000000004664: 0BA9B005
	v_mul_f32_e32 v21, s5, v21                                 // 000000004668: 0A2A2A05
	v_exp_f32_e32 v21, v21                                     // 00000000466C: 7E2A4115
	v_fma_f32 v60, v60, s5, -v212                              // 000000004670: D1CB003C 87500B3C
	v_fma_f32 v61, v61, s5, -v212                              // 000000004678: D1CB003D 87500B3D
	v_fma_f32 v62, v62, s5, -v212                              // 000000004680: D1CB003E 87500B3E
	v_fma_f32 v63, v63, s5, -v212                              // 000000004688: D1CB003F 87500B3F
	v_fma_f32 v64, v64, s5, -v212                              // 000000004690: D1CB0040 87500B40
	v_fma_f32 v65, v65, s5, -v212                              // 000000004698: D1CB0041 87500B41
	v_fma_f32 v66, v66, s5, -v212                              // 0000000046A0: D1CB0042 87500B42
	v_fma_f32 v67, v67, s5, -v212                              // 0000000046A8: D1CB0043 87500B43
	v_fma_f32 v68, v68, s5, -v212                              // 0000000046B0: D1CB0044 87500B44
	v_mfma_f32_32x32x64_f8f6f4 v[140:155], a[104:111], v[44:51], v[140:155]// 0000000046B8: D3AE008C 0E325968
	ds_read_b128 a[80:83], v24 offset:1024                     // 0000000046C0: DBFE0400 50000018
	ds_read_b128 a[84:87], v25 offset:1024                     // 0000000046C8: DBFE0400 54000019
	ds_read_b128 a[88:91], v24 offset:2048                     // 0000000046D0: DBFE0800 58000018
	ds_read_b128 a[92:95], v25 offset:2048                     // 0000000046D8: DBFE0800 5C000019
	ds_read_b128 a[96:99], v24 offset:3072                     // 0000000046E0: DBFE0C00 60000018
	ds_read_b128 a[100:103], v25 offset:3072                   // 0000000046E8: DBFE0C00 64000019
	v_fma_f32 v69, v69, s5, -v212                              // 0000000046F0: D1CB0045 87500B45
	v_fma_f32 v70, v70, s5, -v212                              // 0000000046F8: D1CB0046 87500B46
	v_fma_f32 v71, v71, s5, -v212                              // 000000004700: D1CB0047 87500B47
	v_fma_f32 v72, v72, s5, -v212                              // 000000004708: D1CB0048 87500B48
	v_fma_f32 v73, v73, s5, -v212                              // 000000004710: D1CB0049 87500B49
	v_fma_f32 v74, v74, s5, -v212                              // 000000004718: D1CB004A 87500B4A
	v_fma_f32 v75, v75, s5, -v212                              // 000000004720: D1CB004B 87500B4B
	v_exp_f32_e32 v60, v60                                     // 000000004728: 7E78413C
	v_exp_f32_e32 v61, v61                                     // 00000000472C: 7E7A413D
	v_mfma_f32_32x32x64_f8f6f4 v[156:171], a[112:119], v[44:51], v[156:171]// 000000004730: D3AE009C 0E725970
	buffer_load_dwordx4 v217, s[20:23], 0 offen offset:192 lds // 000000004738: E05D10C0 800500D9
	s_add_i32 m0, m0, 0x3c0                                    // 000000004740: 817CFF7C 000003C0
	v_exp_f32_e32 v62, v62                                     // 000000004748: 7E7C413E
	v_exp_f32_e32 v63, v63                                     // 00000000474C: 7E7E413F
	v_exp_f32_e32 v64, v64                                     // 000000004750: 7E804140
	v_exp_f32_e32 v65, v65                                     // 000000004754: 7E824141
	v_exp_f32_e32 v66, v66                                     // 000000004758: 7E844142
	v_exp_f32_e32 v67, v67                                     // 00000000475C: 7E864143
	v_exp_f32_e32 v68, v68                                     // 000000004760: 7E884144
	v_mfma_f32_32x32x64_f8f6f4 v[172:187], a[120:127], v[44:51], v[172:187]// 000000004764: D3AE00AC 0EB25978
	ds_read_b128 a[104:107], v24 offset:4096                   // 00000000476C: DBFE1000 68000018
	ds_read_b128 a[108:111], v25 offset:4096                   // 000000004774: DBFE1000 6C000019
	ds_read_b128 a[112:115], v24 offset:5120                   // 00000000477C: DBFE1400 70000018
	ds_read_b128 a[116:119], v25 offset:5120                   // 000000004784: DBFE1400 74000019
	ds_read_b128 a[120:123], v24 offset:6144                   // 00000000478C: DBFE1800 78000018
	ds_read_b128 a[124:127], v25 offset:6144                   // 000000004794: DBFE1800 7C000019
	v_exp_f32_e32 v69, v69                                     // 00000000479C: 7E8A4145
	v_exp_f32_e32 v70, v70                                     // 0000000047A0: 7E8C4146
	v_exp_f32_e32 v71, v71                                     // 0000000047A4: 7E8E4147
	v_exp_f32_e32 v72, v72                                     // 0000000047A8: 7E904148
	v_exp_f32_e32 v73, v73                                     // 0000000047AC: 7E924149
	v_mfma_f32_32x32x64_f8f6f4 v[188:203], a[128:135], v[44:51], v[188:203]// 0000000047B0: D3AE00BC 0EF25980
	ds_read_b128 a[128:131], v24 offset:7168                   // 0000000047B8: DBFE1C00 80000018
	ds_read_b128 a[132:135], v25 offset:7168                   // 0000000047C0: DBFE1C00 84000019
	ds_read_b128 a[136:139], v24 offset:8192                   // 0000000047C8: DBFE2000 88000018
	ds_read_b128 a[140:143], v25 offset:8192                   // 0000000047D0: DBFE2000 8C000019
	v_exp_f32_e32 v74, v74                                     // 0000000047D8: 7E94414A
	v_exp_f32_e32 v75, v75                                     // 0000000047DC: 7E96414B
	v_mul_f32_e32 v4, v21, v4                                  // 0000000047E0: 0A080915
	v_mov_b32_e32 v35, v60                                     // 0000000047E4: 7E46033C
	v_add_f32_e32 v35, v61, v35                                // 0000000047E8: 0246473D
	v_add_f32_e32 v35, v62, v35                                // 0000000047EC: 0246473E
	v_add_f32_e32 v35, v63, v35                                // 0000000047F0: 0246473F
	v_add_f32_e32 v35, v64, v35                                // 0000000047F4: 02464740
	v_add_f32_e32 v35, v65, v35                                // 0000000047F8: 02464741
	v_add_f32_e32 v35, v66, v35                                // 0000000047FC: 02464742
	v_add_f32_e32 v35, v67, v35                                // 000000004800: 02464743
	v_add_f32_e32 v35, v68, v35                                // 000000004804: 02464744
	;; [unrolled: 1-line block ×3, first 2 shown]
	v_add_f32_e32 v35, v70, v35                                // 00000000480C: 02464746
	v_add_f32_e32 v35, v71, v35                                // 000000004810: 02464747
	v_add_f32_e32 v35, v72, v35                                // 000000004814: 02464748
	;; [unrolled: 1-line block ×3, first 2 shown]
	v_add_f32_e32 v35, v74, v35                                // 00000000481C: 0246474A
	v_add_f32_e32 v35, v75, v35                                // 000000004820: 0246474B
	v_add_f32_e32 v4, v35, v4                                  // 000000004824: 02080923
	v_cvt_pk_fp8_f32 v60, v60, v61                             // 000000004828: D2A2003C 00027B3C
	v_cvt_pk_fp8_f32 v60, v62, v63 op_sel:[0,0,1]              // 000000004830: D2A2403C 00027F3E
	v_cvt_pk_fp8_f32 v61, v64, v65                             // 000000004838: D2A2003D 00028340
	v_cvt_pk_fp8_f32 v61, v66, v67 op_sel:[0,0,1]              // 000000004840: D2A2403D 00028742
	v_cvt_pk_fp8_f32 v62, v68, v69                             // 000000004848: D2A2003E 00028B44
	v_cvt_pk_fp8_f32 v62, v70, v71 op_sel:[0,0,1]              // 000000004850: D2A2403E 00028F46
	v_cvt_pk_fp8_f32 v63, v72, v73                             // 000000004858: D2A2003F 00029348
	v_cvt_pk_fp8_f32 v63, v74, v75 op_sel:[0,0,1]              // 000000004860: D2A2403F 0002974A
	s_waitcnt lgkmcnt(8)                                       // 000000004868: BF8CC87F
	v_mfma_f32_32x32x64_f8f6f4 v[44:59], a[72:79], a[0:7], 0   // 00000000486C: D3AE002C 1A020148
	ds_write_b128 v43, v[60:63] offset:1024                    // 000000004874: D9BE0400 00003C2B
	buffer_load_dword v30, v34, s[24:27], 0 offen              // 00000000487C: E0501000 80061E22
	buffer_load_dwordx4 v217, s[20:23], 0 offen offset:256 lds // 000000004884: E05D1100 800500D9
	s_add_i32 m0, m0, 0x3c0                                    // 00000000488C: 817CFF7C 000003C0
	v_mul_f32_e32 v76, v21, v76                                // 000000004894: 0A989915
	v_mul_f32_e32 v77, v21, v77                                // 000000004898: 0A9A9B15
	v_mul_f32_e32 v78, v21, v78                                // 00000000489C: 0A9C9D15
	v_mul_f32_e32 v79, v21, v79                                // 0000000048A0: 0A9E9F15
	v_mul_f32_e32 v80, v21, v80                                // 0000000048A4: 0AA0A115
	v_mul_f32_e32 v81, v21, v81                                // 0000000048A8: 0AA2A315
	v_mul_f32_e32 v82, v21, v82                                // 0000000048AC: 0AA4A515
	v_mul_f32_e32 v83, v21, v83                                // 0000000048B0: 0AA6A715
	v_mul_f32_e32 v84, v21, v84                                // 0000000048B4: 0AA8A915
	v_mfma_f32_32x32x64_f8f6f4 v[44:59], a[80:87], a[8:15], v[44:59]// 0000000048B8: D3AE002C 1CB21150
	ds_read_b64_tr_b8 a[72:73], v5                             // 0000000048C0: DBC40000 48000005
	ds_read_b64_tr_b8 a[74:75], v6                             // 0000000048C8: DBC40000 4A000006
	ds_read_b64_tr_b8 a[76:77], v5 offset:18432                // 0000000048D0: DBC44800 4C000005
	ds_read_b64_tr_b8 a[78:79], v6 offset:18432                // 0000000048D8: DBC44800 4E000006
	ds_read_b64_tr_b8 a[80:81], v7                             // 0000000048E0: DBC40000 50000007
	ds_read_b64_tr_b8 a[82:83], v8                             // 0000000048E8: DBC40000 52000008
	ds_read_b64_tr_b8 a[84:85], v7 offset:18432                // 0000000048F0: DBC44800 54000007
	ds_read_b64_tr_b8 a[86:87], v8 offset:18432                // 0000000048F8: DBC44800 56000008
	v_mul_f32_e32 v85, v21, v85                                // 000000004900: 0AAAAB15
	v_mul_f32_e32 v86, v21, v86                                // 000000004904: 0AACAD15
	v_mul_f32_e32 v87, v21, v87                                // 000000004908: 0AAEAF15
	v_mul_f32_e32 v88, v21, v88                                // 00000000490C: 0AB0B115
	v_mul_f32_e32 v89, v21, v89                                // 000000004910: 0AB2B315
	v_mul_f32_e32 v90, v21, v90                                // 000000004914: 0AB4B515
	v_mul_f32_e32 v91, v21, v91                                // 000000004918: 0AB6B715
	v_mul_f32_e32 v92, v21, v92                                // 00000000491C: 0AB8B915
	v_mul_f32_e32 v93, v21, v93                                // 000000004920: 0ABABB15
	v_mul_f32_e32 v94, v21, v94                                // 000000004924: 0ABCBD15
	v_mul_f32_e32 v95, v21, v95                                // 000000004928: 0ABEBF15
	v_mul_f32_e32 v96, v21, v96                                // 00000000492C: 0AC0C115
	s_waitcnt lgkmcnt(0)                                       // 000000004930: BF8CC07F
	s_barrier                                                  // 000000004934: BF8A0000
	v_mfma_f32_32x32x64_f8f6f4 v[44:59], a[88:95], a[16:23], v[44:59]// 000000004938: D3AE002C 1CB22158
	ds_read_b128 v[60:63], v42 offset:1024                     // 000000004940: D9FE0400 3C00002A
	ds_read_b128 v[64:67], v42 offset:2048                     // 000000004948: D9FE0800 4000002A
	buffer_load_dwordx4 v217, s[20:23], 0 offen offset:320 lds // 000000004950: E05D1140 800500D9
	s_add_i32 m0, m0, 0x3c0                                    // 000000004958: 817CFF7C 000003C0
	v_mul_f32_e32 v97, v21, v97                                // 000000004960: 0AC2C315
	v_mul_f32_e32 v98, v21, v98                                // 000000004964: 0AC4C515
	v_mul_f32_e32 v99, v21, v99                                // 000000004968: 0AC6C715
	v_mul_f32_e32 v100, v21, v100                              // 00000000496C: 0AC8C915
	v_mul_f32_e32 v101, v21, v101                              // 000000004970: 0ACACB15
	v_mul_f32_e32 v102, v21, v102                              // 000000004974: 0ACCCD15
	v_mul_f32_e32 v103, v21, v103                              // 000000004978: 0ACECF15
	v_mul_f32_e32 v104, v21, v104                              // 00000000497C: 0AD0D115
	v_mul_f32_e32 v105, v21, v105                              // 000000004980: 0AD2D315
	v_mul_f32_e32 v106, v21, v106                              // 000000004984: 0AD4D515
	v_mul_f32_e32 v107, v21, v107                              // 000000004988: 0AD6D715
	v_mul_f32_e32 v108, v21, v108                              // 00000000498C: 0AD8D915
	v_add_u32_e32 v34, s73, v34                                // 000000004990: 68444449
	v_mfma_f32_32x32x64_f8f6f4 v[44:59], a[96:103], a[24:31], v[44:59]// 000000004994: D3AE002C 1CB23160
	ds_read_b64_tr_b8 a[88:89], v5 offset:1024                 // 00000000499C: DBC40400 58000005
	ds_read_b64_tr_b8 a[90:91], v6 offset:1024                 // 0000000049A4: DBC40400 5A000006
	ds_read_b64_tr_b8 a[92:93], v5 offset:19456                // 0000000049AC: DBC44C00 5C000005
	ds_read_b64_tr_b8 a[94:95], v6 offset:19456                // 0000000049B4: DBC44C00 5E000006
	ds_read_b64_tr_b8 a[96:97], v7 offset:1024                 // 0000000049BC: DBC40400 60000007
	ds_read_b64_tr_b8 a[98:99], v8 offset:1024                 // 0000000049C4: DBC40400 62000008
	ds_read_b64_tr_b8 a[100:101], v7 offset:19456              // 0000000049CC: DBC44C00 64000007
	ds_read_b64_tr_b8 a[102:103], v8 offset:19456              // 0000000049D4: DBC44C00 66000008
	v_mul_f32_e32 v109, v21, v109                              // 0000000049DC: 0ADADB15
	v_mul_f32_e32 v110, v21, v110                              // 0000000049E0: 0ADCDD15
	v_mul_f32_e32 v111, v21, v111                              // 0000000049E4: 0ADEDF15
	v_mul_f32_e32 v112, v21, v112                              // 0000000049E8: 0AE0E115
	v_mul_f32_e32 v113, v21, v113                              // 0000000049EC: 0AE2E315
	v_mul_f32_e32 v114, v21, v114                              // 0000000049F0: 0AE4E515
	v_mul_f32_e32 v115, v21, v115                              // 0000000049F4: 0AE6E715
	v_mul_f32_e32 v116, v21, v116                              // 0000000049F8: 0AE8E915
	v_mul_f32_e32 v117, v21, v117                              // 0000000049FC: 0AEAEB15
	v_mul_f32_e32 v118, v21, v118                              // 000000004A00: 0AECED15
	v_mul_f32_e32 v119, v21, v119                              // 000000004A04: 0AEEEF15
	v_mul_f32_e32 v120, v21, v120                              // 000000004A08: 0AF0F115
	v_mfma_f32_32x32x64_f8f6f4 v[44:59], a[104:111], a[32:39], v[44:59]// 000000004A0C: D3AE002C 1CB24168
	buffer_load_dwordx4 v217, s[20:23], 0 offen offset:384 lds // 000000004A14: E05D1180 800500D9
	s_add_i32 m0, m0, 0x3c0                                    // 000000004A1C: 817CFF7C 000003C0
	v_mul_f32_e32 v121, v21, v121                              // 000000004A24: 0AF2F315
	v_mul_f32_e32 v122, v21, v122                              // 000000004A28: 0AF4F515
	v_mul_f32_e32 v123, v21, v123                              // 000000004A2C: 0AF6F715
	v_mul_f32_e32 v124, v21, v124                              // 000000004A30: 0AF8F915
	v_mul_f32_e32 v125, v21, v125                              // 000000004A34: 0AFAFB15
	v_mul_f32_e32 v126, v21, v126                              // 000000004A38: 0AFCFD15
	v_mul_f32_e32 v127, v21, v127                              // 000000004A3C: 0AFEFF15
	v_mul_f32_e32 v128, v21, v128                              // 000000004A40: 0B010115
	v_mul_f32_e32 v129, v21, v129                              // 000000004A44: 0B030315
	v_mul_f32_e32 v130, v21, v130                              // 000000004A48: 0B050515
	v_mul_f32_e32 v131, v21, v131                              // 000000004A4C: 0B070715
	v_mul_f32_e32 v132, v21, v132                              // 000000004A50: 0B090915
	v_mfma_f32_32x32x64_f8f6f4 v[44:59], a[112:119], a[40:47], v[44:59]// 000000004A54: D3AE002C 1CB25170
	s_waitcnt lgkmcnt(0)                                       // 000000004A5C: BF8CC07F
	ds_read_b64_tr_b8 a[104:105], v5 offset:2048               // 000000004A60: DBC40800 68000005
	ds_read_b64_tr_b8 a[106:107], v6 offset:2048               // 000000004A68: DBC40800 6A000006
	ds_read_b64_tr_b8 a[108:109], v5 offset:20480              // 000000004A70: DBC45000 6C000005
	ds_read_b64_tr_b8 a[110:111], v6 offset:20480              // 000000004A78: DBC45000 6E000006
	ds_read_b64_tr_b8 a[112:113], v7 offset:2048               // 000000004A80: DBC40800 70000007
	ds_read_b64_tr_b8 a[114:115], v8 offset:2048               // 000000004A88: DBC40800 72000008
	ds_read_b64_tr_b8 a[116:117], v7 offset:20480              // 000000004A90: DBC45000 74000007
	ds_read_b64_tr_b8 a[118:119], v8 offset:20480              // 000000004A98: DBC45000 76000008
	v_mul_f32_e32 v133, v21, v133                              // 000000004AA0: 0B0B0B15
	v_mul_f32_e32 v134, v21, v134                              // 000000004AA4: 0B0D0D15
	v_mul_f32_e32 v135, v21, v135                              // 000000004AA8: 0B0F0F15
	v_mul_f32_e32 v136, v21, v136                              // 000000004AAC: 0B111115
	v_mul_f32_e32 v137, v21, v137                              // 000000004AB0: 0B131315
	v_mul_f32_e32 v138, v21, v138                              // 000000004AB4: 0B151515
	v_mul_f32_e32 v139, v21, v139                              // 000000004AB8: 0B171715
	v_mfma_f32_32x32x64_f8f6f4 v[44:59], a[120:127], a[48:55], v[44:59]// 000000004ABC: D3AE002C 1CB26178
	buffer_load_dwordx4 v217, s[20:23], 0 offen offset:448 lds // 000000004AC4: E05D11C0 800500D9
	s_add_i32 m0, m0, 0x3c0                                    // 000000004ACC: 817CFF7C 000003C0
	v_permlane32_swap_b32_e32 v60, v62                         // 000000004AD4: 7E78B53E
	v_permlane32_swap_b32_e32 v61, v63                         // 000000004AD8: 7E7AB53F
	v_swap_b32 v61, v62                                        // 000000004ADC: 7E7AA33E
	v_permlane32_swap_b32_e32 v64, v66                         // 000000004AE0: 7E80B542
	v_permlane32_swap_b32_e32 v65, v67                         // 000000004AE4: 7E82B543
	v_swap_b32 v65, v66                                        // 000000004AE8: 7E82A342
	v_mfma_f32_32x32x64_f8f6f4 v[44:59], a[128:135], a[56:63], v[44:59]// 000000004AEC: D3AE002C 1CB27180
	ds_read_b64_tr_b8 a[120:121], v5 offset:3072               // 000000004AF4: DBC40C00 78000005
	ds_read_b64_tr_b8 a[122:123], v6 offset:3072               // 000000004AFC: DBC40C00 7A000006
	ds_read_b64_tr_b8 a[124:125], v5 offset:21504              // 000000004B04: DBC45400 7C000005
	ds_read_b64_tr_b8 a[126:127], v6 offset:21504              // 000000004B0C: DBC45400 7E000006
	ds_read_b64_tr_b8 a[128:129], v7 offset:3072               // 000000004B14: DBC40C00 80000007
	ds_read_b64_tr_b8 a[130:131], v8 offset:3072               // 000000004B1C: DBC40C00 82000008
	ds_read_b64_tr_b8 a[132:133], v7 offset:21504              // 000000004B24: DBC45400 84000007
	ds_read_b64_tr_b8 a[134:135], v8 offset:21504              // 000000004B2C: DBC45400 86000008
	v_mov_b32_e32 v36, v21                                     // 000000004B34: 7E480315
	v_mov_b32_e32 v37, v21                                     // 000000004B38: 7E4A0315
	v_pk_mul_f32 v[140:141], v[36:37], v[140:141]              // 000000004B3C: D3B1408C 18031924
	v_pk_mul_f32 v[142:143], v[36:37], v[142:143]              // 000000004B44: D3B1408E 18031D24
	v_pk_mul_f32 v[144:145], v[36:37], v[144:145]              // 000000004B4C: D3B14090 18032124
	v_pk_mul_f32 v[146:147], v[36:37], v[146:147]              // 000000004B54: D3B14092 18032524
	v_pk_mul_f32 v[148:149], v[36:37], v[148:149]              // 000000004B5C: D3B14094 18032924
	v_pk_mul_f32 v[150:151], v[36:37], v[150:151]              // 000000004B64: D3B14096 18032D24
	v_pk_mul_f32 v[152:153], v[36:37], v[152:153]              // 000000004B6C: D3B14098 18033124
	v_pk_mul_f32 v[154:155], v[36:37], v[154:155]              // 000000004B74: D3B1409A 18033524
	v_pk_mul_f32 v[156:157], v[36:37], v[156:157]              // 000000004B7C: D3B1409C 18033924
	v_pk_mul_f32 v[158:159], v[36:37], v[158:159]              // 000000004B84: D3B1409E 18033D24
	v_pk_mul_f32 v[160:161], v[36:37], v[160:161]              // 000000004B8C: D3B140A0 18034124
	v_pk_mul_f32 v[162:163], v[36:37], v[162:163]              // 000000004B94: D3B140A2 18034524
	v_pk_mul_f32 v[164:165], v[36:37], v[164:165]              // 000000004B9C: D3B140A4 18034924
	v_pk_mul_f32 v[166:167], v[36:37], v[166:167]              // 000000004BA4: D3B140A6 18034D24
	v_pk_mul_f32 v[168:169], v[36:37], v[168:169]              // 000000004BAC: D3B140A8 18035124
	v_pk_mul_f32 v[170:171], v[36:37], v[170:171]              // 000000004BB4: D3B140AA 18035524
	v_pk_mul_f32 v[172:173], v[36:37], v[172:173]              // 000000004BBC: D3B140AC 18035924
	v_pk_mul_f32 v[174:175], v[36:37], v[174:175]              // 000000004BC4: D3B140AE 18035D24
	v_pk_mul_f32 v[176:177], v[36:37], v[176:177]              // 000000004BCC: D3B140B0 18036124
	v_pk_mul_f32 v[178:179], v[36:37], v[178:179]              // 000000004BD4: D3B140B2 18036524
	v_pk_mul_f32 v[180:181], v[36:37], v[180:181]              // 000000004BDC: D3B140B4 18036924
	v_pk_mul_f32 v[182:183], v[36:37], v[182:183]              // 000000004BE4: D3B140B6 18036D24
	v_pk_mul_f32 v[184:185], v[36:37], v[184:185]              // 000000004BEC: D3B140B8 18037124
	v_pk_mul_f32 v[186:187], v[36:37], v[186:187]              // 000000004BF4: D3B140BA 18037524
	v_pk_mul_f32 v[188:189], v[36:37], v[188:189]              // 000000004BFC: D3B140BC 18037924
	v_pk_mul_f32 v[190:191], v[36:37], v[190:191]              // 000000004C04: D3B140BE 18037D24
	v_pk_mul_f32 v[192:193], v[36:37], v[192:193]              // 000000004C0C: D3B140C0 18038124
	v_pk_mul_f32 v[194:195], v[36:37], v[194:195]              // 000000004C14: D3B140C2 18038524
	v_pk_mul_f32 v[196:197], v[36:37], v[196:197]              // 000000004C1C: D3B140C4 18038924
	v_pk_mul_f32 v[198:199], v[36:37], v[198:199]              // 000000004C24: D3B140C6 18038D24
	v_pk_mul_f32 v[200:201], v[36:37], v[200:201]              // 000000004C2C: D3B140C8 18039124
	v_pk_mul_f32 v[202:203], v[36:37], v[202:203]              // 000000004C34: D3B140CA 18039524
	v_mfma_f32_32x32x64_f8f6f4 v[44:59], a[136:143], a[64:71], v[44:59]// 000000004C3C: D3AE002C 1CB28188
	buffer_load_dwordx4 v217, s[20:23], 0 offen offset:512 lds // 000000004C44: E05D1200 800500D9
	s_add_i32 m0, m0, 0x3c0                                    // 000000004C4C: 817CFF7C 000003C0
	s_addk_i32 s70, 0x1                                        // 000000004C54: B7460001
	s_cmp_lt_i32 s70, s71                                      // 000000004C58: BF044746
	s_cbranch_scc0 label_2F98                                  // 000000004C5C: BF8401CE
	v_mul_u32_u24_e64 v217, v33, s68                           // 000000004C60: D10800D9 00008921
	v_add_u32_e32 v217, v217, v1                               // 000000004C68: 69B203D9
	s_waitcnt vmcnt(10)                                        // 000000004C6C: BF8C0F7A
	s_barrier                                                  // 000000004C70: BF8A0000
	s_waitcnt lgkmcnt(8)                                       // 000000004C74: BF8CC87F
	v_mfma_f32_32x32x64_f8f6f4 v[76:91], a[72:79], v[60:67], v[76:91]// 000000004C78: D3AE004C 0D327948
	ds_read_b128 a[72:75], v26                                 // 000000004C80: DBFE0000 4800001A
	ds_read_b128 a[76:79], v27                                 // 000000004C88: DBFE0000 4C00001B
	v_mov_b32_e32 v213, v44                                    // 000000004C90: 7FAA032C
	v_max3_f32 v213, v44, v45, v213                            // 000000004C94: D1D300D5 07565B2C
	v_max3_f32 v213, v46, v47, v213                            // 000000004C9C: D1D300D5 07565F2E
	v_max3_f32 v213, v48, v49, v213                            // 000000004CA4: D1D300D5 07566330
	v_max3_f32 v213, v50, v51, v213                            // 000000004CAC: D1D300D5 07566732
	v_max3_f32 v213, v52, v53, v213                            // 000000004CB4: D1D300D5 07566B34
	v_max3_f32 v213, v54, v55, v213                            // 000000004CBC: D1D300D5 07566F36
	v_max3_f32 v213, v56, v57, v213                            // 000000004CC4: D1D300D5 07567338
	v_max3_f32 v213, v58, v59, v213                            // 000000004CCC: D1D300D5 0756773A
	v_mov_b32_e32 v35, v213                                    // 000000004CD4: 7E4603D5
	v_mov_b32_e32 v36, v213                                    // 000000004CD8: 7E4803D5
	s_nop 0                                                    // 000000004CDC: BF800000
	v_mfma_f32_32x32x64_f8f6f4 v[92:107], a[80:87], v[60:67], v[92:107]// 000000004CE0: D3AE005C 0D727950
	v_permlane32_swap_b32_e32 v35, v36                         // 000000004CE8: 7E46B524
	v_max3_f32 v213, v35, v36, v213                            // 000000004CEC: D1D300D5 07564923
	ds_write_b32 v41, v213                                     // 000000004CF4: D81A0000 0000D529
	s_mov_b32 s56, 0x2000                                      // 000000004CFC: BEB800FF 00002000
	s_mul_i32 s57, s7, 0x2400                                  // 000000004D04: 9239FF07 00002400
	s_add_u32 m0, s56, s57                                     // 000000004D0C: 807C3938
	buffer_load_dwordx4 v217, s[20:23], 0 offen lds            // 000000004D10: E05D1000 800500D9
	s_add_i32 m0, m0, 0x3c0                                    // 000000004D18: 817CFF7C 000003C0
	buffer_load_dwordx4 v217, s[20:23], 0 offen offset:64 lds  // 000000004D20: E05D1040 800500D9
	s_add_i32 m0, m0, 0x3c0                                    // 000000004D28: 817CFF7C 000003C0
	s_waitcnt lgkmcnt(0)                                       // 000000004D30: BF8CC07F
	s_barrier                                                  // 000000004D34: BF8A0000
	v_mfma_f32_32x32x64_f8f6f4 v[108:123], a[88:95], v[60:67], v[108:123]// 000000004D38: D3AE006C 0DB27958
	ds_read_b32 v35, v40                                       // 000000004D40: D86C0000 23000028
	ds_read_b32 v36, v40 offset:256                            // 000000004D48: D86C0100 24000028
	s_waitcnt lgkmcnt(0)                                       // 000000004D50: BF8CC07F
	v_max3_f32 v213, v35, v36, v213                            // 000000004D54: D1D300D5 07564923
	v_mov_b32_e32 v35, 0xff800000                              // 000000004D5C: 7E4602FF FF800000
	v_cmp_eq_u32_e64 s[36:37], v35, v2                         // 000000004D64: D0CA0024 00020523
	v_max_f32_e32 v216, v213, v2                               // 000000004D6C: 17B005D5
	v_sub_f32_e32 v21, v2, v216                                // 000000004D70: 042BB102
	v_cndmask_b32_e64 v21, v21, 0, s[36:37]                    // 000000004D74: D1000015 00910115
	v_mfma_f32_32x32x64_f8f6f4 v[124:139], a[96:103], v[60:67], v[124:139]// 000000004D7C: D3AE007C 0DF27960
	buffer_load_dwordx4 v217, s[20:23], 0 offen offset:128 lds // 000000004D84: E05D1080 800500D9
	s_add_i32 m0, m0, 0x3c0                                    // 000000004D8C: 817CFF7C 000003C0
	v_mov_b32_e32 v2, v216                                     // 000000004D94: 7E0403D8
	v_mul_f32_e32 v212, s5, v216                               // 000000004D98: 0BA9B005
	v_mul_f32_e32 v21, s5, v21                                 // 000000004D9C: 0A2A2A05
	v_exp_f32_e32 v21, v21                                     // 000000004DA0: 7E2A4115
	v_fma_f32 v44, v44, s5, -v212                              // 000000004DA4: D1CB002C 87500B2C
	v_fma_f32 v45, v45, s5, -v212                              // 000000004DAC: D1CB002D 87500B2D
	v_fma_f32 v46, v46, s5, -v212                              // 000000004DB4: D1CB002E 87500B2E
	v_fma_f32 v47, v47, s5, -v212                              // 000000004DBC: D1CB002F 87500B2F
	v_fma_f32 v48, v48, s5, -v212                              // 000000004DC4: D1CB0030 87500B30
	v_fma_f32 v49, v49, s5, -v212                              // 000000004DCC: D1CB0031 87500B31
	v_fma_f32 v50, v50, s5, -v212                              // 000000004DD4: D1CB0032 87500B32
	v_fma_f32 v51, v51, s5, -v212                              // 000000004DDC: D1CB0033 87500B33
	v_fma_f32 v52, v52, s5, -v212                              // 000000004DE4: D1CB0034 87500B34
	v_mfma_f32_32x32x64_f8f6f4 v[140:155], a[104:111], v[60:67], v[140:155]// 000000004DEC: D3AE008C 0E327968
	ds_read_b128 a[80:83], v26 offset:1024                     // 000000004DF4: DBFE0400 5000001A
	ds_read_b128 a[84:87], v27 offset:1024                     // 000000004DFC: DBFE0400 5400001B
	ds_read_b128 a[88:91], v26 offset:2048                     // 000000004E04: DBFE0800 5800001A
	ds_read_b128 a[92:95], v27 offset:2048                     // 000000004E0C: DBFE0800 5C00001B
	ds_read_b128 a[96:99], v26 offset:3072                     // 000000004E14: DBFE0C00 6000001A
	ds_read_b128 a[100:103], v27 offset:3072                   // 000000004E1C: DBFE0C00 6400001B
	v_fma_f32 v53, v53, s5, -v212                              // 000000004E24: D1CB0035 87500B35
	v_fma_f32 v54, v54, s5, -v212                              // 000000004E2C: D1CB0036 87500B36
	v_fma_f32 v55, v55, s5, -v212                              // 000000004E34: D1CB0037 87500B37
	v_fma_f32 v56, v56, s5, -v212                              // 000000004E3C: D1CB0038 87500B38
	v_fma_f32 v57, v57, s5, -v212                              // 000000004E44: D1CB0039 87500B39
	v_fma_f32 v58, v58, s5, -v212                              // 000000004E4C: D1CB003A 87500B3A
	v_fma_f32 v59, v59, s5, -v212                              // 000000004E54: D1CB003B 87500B3B
	v_exp_f32_e32 v44, v44                                     // 000000004E5C: 7E58412C
	v_exp_f32_e32 v45, v45                                     // 000000004E60: 7E5A412D
	v_mfma_f32_32x32x64_f8f6f4 v[156:171], a[112:119], v[60:67], v[156:171]// 000000004E64: D3AE009C 0E727970
	buffer_load_dwordx4 v217, s[20:23], 0 offen offset:192 lds // 000000004E6C: E05D10C0 800500D9
	s_add_i32 m0, m0, 0x3c0                                    // 000000004E74: 817CFF7C 000003C0
	v_exp_f32_e32 v46, v46                                     // 000000004E7C: 7E5C412E
	v_exp_f32_e32 v47, v47                                     // 000000004E80: 7E5E412F
	v_exp_f32_e32 v48, v48                                     // 000000004E84: 7E604130
	v_exp_f32_e32 v49, v49                                     // 000000004E88: 7E624131
	v_exp_f32_e32 v50, v50                                     // 000000004E8C: 7E644132
	v_exp_f32_e32 v51, v51                                     // 000000004E90: 7E664133
	v_exp_f32_e32 v52, v52                                     // 000000004E94: 7E684134
	v_mfma_f32_32x32x64_f8f6f4 v[172:187], a[120:127], v[60:67], v[172:187]// 000000004E98: D3AE00AC 0EB27978
	ds_read_b128 a[104:107], v26 offset:4096                   // 000000004EA0: DBFE1000 6800001A
	ds_read_b128 a[108:111], v27 offset:4096                   // 000000004EA8: DBFE1000 6C00001B
	ds_read_b128 a[112:115], v26 offset:5120                   // 000000004EB0: DBFE1400 7000001A
	ds_read_b128 a[116:119], v27 offset:5120                   // 000000004EB8: DBFE1400 7400001B
	ds_read_b128 a[120:123], v26 offset:6144                   // 000000004EC0: DBFE1800 7800001A
	ds_read_b128 a[124:127], v27 offset:6144                   // 000000004EC8: DBFE1800 7C00001B
	v_exp_f32_e32 v53, v53                                     // 000000004ED0: 7E6A4135
	v_exp_f32_e32 v54, v54                                     // 000000004ED4: 7E6C4136
	v_exp_f32_e32 v55, v55                                     // 000000004ED8: 7E6E4137
	v_exp_f32_e32 v56, v56                                     // 000000004EDC: 7E704138
	v_exp_f32_e32 v57, v57                                     // 000000004EE0: 7E724139
	v_mfma_f32_32x32x64_f8f6f4 v[188:203], a[128:135], v[60:67], v[188:203]// 000000004EE4: D3AE00BC 0EF27980
	ds_read_b128 a[128:131], v26 offset:7168                   // 000000004EEC: DBFE1C00 8000001A
	ds_read_b128 a[132:135], v27 offset:7168                   // 000000004EF4: DBFE1C00 8400001B
	ds_read_b128 a[136:139], v26 offset:8192                   // 000000004EFC: DBFE2000 8800001A
	ds_read_b128 a[140:143], v27 offset:8192                   // 000000004F04: DBFE2000 8C00001B
	v_exp_f32_e32 v58, v58                                     // 000000004F0C: 7E74413A
	v_exp_f32_e32 v59, v59                                     // 000000004F10: 7E76413B
	v_mul_f32_e32 v4, v21, v4                                  // 000000004F14: 0A080915
	v_mov_b32_e32 v35, v44                                     // 000000004F18: 7E46032C
	v_add_f32_e32 v35, v45, v35                                // 000000004F1C: 0246472D
	v_add_f32_e32 v35, v46, v35                                // 000000004F20: 0246472E
	v_add_f32_e32 v35, v47, v35                                // 000000004F24: 0246472F
	v_add_f32_e32 v35, v48, v35                                // 000000004F28: 02464730
	v_add_f32_e32 v35, v49, v35                                // 000000004F2C: 02464731
	v_add_f32_e32 v35, v50, v35                                // 000000004F30: 02464732
	v_add_f32_e32 v35, v51, v35                                // 000000004F34: 02464733
	v_add_f32_e32 v35, v52, v35                                // 000000004F38: 02464734
	v_add_f32_e32 v35, v53, v35                                // 000000004F3C: 02464735
	v_add_f32_e32 v35, v54, v35                                // 000000004F40: 02464736
	v_add_f32_e32 v35, v55, v35                                // 000000004F44: 02464737
	v_add_f32_e32 v35, v56, v35                                // 000000004F48: 02464738
	v_add_f32_e32 v35, v57, v35                                // 000000004F4C: 02464739
	v_add_f32_e32 v35, v58, v35                                // 000000004F50: 0246473A
	v_add_f32_e32 v35, v59, v35                                // 000000004F54: 0246473B
	v_add_f32_e32 v4, v35, v4                                  // 000000004F58: 02080923
	v_cvt_pk_fp8_f32 v44, v44, v45                             // 000000004F5C: D2A2002C 00025B2C
	v_cvt_pk_fp8_f32 v44, v46, v47 op_sel:[0,0,1]              // 000000004F64: D2A2402C 00025F2E
	v_cvt_pk_fp8_f32 v45, v48, v49                             // 000000004F6C: D2A2002D 00026330
	v_cvt_pk_fp8_f32 v45, v50, v51 op_sel:[0,0,1]              // 000000004F74: D2A2402D 00026732
	v_cvt_pk_fp8_f32 v46, v52, v53                             // 000000004F7C: D2A2002E 00026B34
	v_cvt_pk_fp8_f32 v46, v54, v55 op_sel:[0,0,1]              // 000000004F84: D2A2402E 00026F36
	v_cvt_pk_fp8_f32 v47, v56, v57                             // 000000004F8C: D2A2002F 00027338
	v_cvt_pk_fp8_f32 v47, v58, v59 op_sel:[0,0,1]              // 000000004F94: D2A2402F 0002773A
	s_waitcnt lgkmcnt(8)                                       // 000000004F9C: BF8CC87F
	v_mfma_f32_32x32x64_f8f6f4 v[60:75], a[72:79], a[0:7], 0   // 000000004FA0: D3AE003C 1A020148
	ds_write_b128 v43, v[44:47] offset:1024                    // 000000004FA8: D9BE0400 00002C2B
	buffer_load_dword v31, v34, s[24:27], 0 offen              // 000000004FB0: E0501000 80061F22
	buffer_load_dwordx4 v217, s[20:23], 0 offen offset:256 lds // 000000004FB8: E05D1100 800500D9
	s_add_i32 m0, m0, 0x3c0                                    // 000000004FC0: 817CFF7C 000003C0
	v_mul_f32_e32 v76, v21, v76                                // 000000004FC8: 0A989915
	v_mul_f32_e32 v77, v21, v77                                // 000000004FCC: 0A9A9B15
	v_mul_f32_e32 v78, v21, v78                                // 000000004FD0: 0A9C9D15
	v_mul_f32_e32 v79, v21, v79                                // 000000004FD4: 0A9E9F15
	v_mul_f32_e32 v80, v21, v80                                // 000000004FD8: 0AA0A115
	v_mul_f32_e32 v81, v21, v81                                // 000000004FDC: 0AA2A315
	v_mul_f32_e32 v82, v21, v82                                // 000000004FE0: 0AA4A515
	v_mul_f32_e32 v83, v21, v83                                // 000000004FE4: 0AA6A715
	v_mul_f32_e32 v84, v21, v84                                // 000000004FE8: 0AA8A915
	v_mfma_f32_32x32x64_f8f6f4 v[60:75], a[80:87], a[8:15], v[60:75]// 000000004FEC: D3AE003C 1CF21150
	ds_read_b64_tr_b8 a[72:73], v9                             // 000000004FF4: DBC40000 48000009
	ds_read_b64_tr_b8 a[74:75], v10                            // 000000004FFC: DBC40000 4A00000A
	ds_read_b64_tr_b8 a[76:77], v9 offset:18432                // 000000005004: DBC44800 4C000009
	ds_read_b64_tr_b8 a[78:79], v10 offset:18432               // 00000000500C: DBC44800 4E00000A
	ds_read_b64_tr_b8 a[80:81], v11                            // 000000005014: DBC40000 5000000B
	ds_read_b64_tr_b8 a[82:83], v12                            // 00000000501C: DBC40000 5200000C
	ds_read_b64_tr_b8 a[84:85], v11 offset:18432               // 000000005024: DBC44800 5400000B
	ds_read_b64_tr_b8 a[86:87], v12 offset:18432               // 00000000502C: DBC44800 5600000C
	v_mul_f32_e32 v85, v21, v85                                // 000000005034: 0AAAAB15
	v_mul_f32_e32 v86, v21, v86                                // 000000005038: 0AACAD15
	v_mul_f32_e32 v87, v21, v87                                // 00000000503C: 0AAEAF15
	v_mul_f32_e32 v88, v21, v88                                // 000000005040: 0AB0B115
	v_mul_f32_e32 v89, v21, v89                                // 000000005044: 0AB2B315
	v_mul_f32_e32 v90, v21, v90                                // 000000005048: 0AB4B515
	v_mul_f32_e32 v91, v21, v91                                // 00000000504C: 0AB6B715
	v_mul_f32_e32 v92, v21, v92                                // 000000005050: 0AB8B915
	v_mul_f32_e32 v93, v21, v93                                // 000000005054: 0ABABB15
	v_mul_f32_e32 v94, v21, v94                                // 000000005058: 0ABCBD15
	v_mul_f32_e32 v95, v21, v95                                // 00000000505C: 0ABEBF15
	v_mul_f32_e32 v96, v21, v96                                // 000000005060: 0AC0C115
	s_waitcnt lgkmcnt(0)                                       // 000000005064: BF8CC07F
	s_barrier                                                  // 000000005068: BF8A0000
	v_mfma_f32_32x32x64_f8f6f4 v[60:75], a[88:95], a[16:23], v[60:75]// 00000000506C: D3AE003C 1CF22158
	ds_read_b128 v[44:47], v42 offset:1024                     // 000000005074: D9FE0400 2C00002A
	ds_read_b128 v[48:51], v42 offset:2048                     // 00000000507C: D9FE0800 3000002A
	buffer_load_dwordx4 v217, s[20:23], 0 offen offset:320 lds // 000000005084: E05D1140 800500D9
	s_add_i32 m0, m0, 0x3c0                                    // 00000000508C: 817CFF7C 000003C0
	v_mul_f32_e32 v97, v21, v97                                // 000000005094: 0AC2C315
	v_mul_f32_e32 v98, v21, v98                                // 000000005098: 0AC4C515
	v_mul_f32_e32 v99, v21, v99                                // 00000000509C: 0AC6C715
	v_mul_f32_e32 v100, v21, v100                              // 0000000050A0: 0AC8C915
	v_mul_f32_e32 v101, v21, v101                              // 0000000050A4: 0ACACB15
	v_mul_f32_e32 v102, v21, v102                              // 0000000050A8: 0ACCCD15
	v_mul_f32_e32 v103, v21, v103                              // 0000000050AC: 0ACECF15
	v_mul_f32_e32 v104, v21, v104                              // 0000000050B0: 0AD0D115
	v_mul_f32_e32 v105, v21, v105                              // 0000000050B4: 0AD2D315
	v_mul_f32_e32 v106, v21, v106                              // 0000000050B8: 0AD4D515
	v_mul_f32_e32 v107, v21, v107                              // 0000000050BC: 0AD6D715
	v_mul_f32_e32 v108, v21, v108                              // 0000000050C0: 0AD8D915
	v_add_u32_e32 v34, s73, v34                                // 0000000050C4: 68444449
	v_mfma_f32_32x32x64_f8f6f4 v[60:75], a[96:103], a[24:31], v[60:75]// 0000000050C8: D3AE003C 1CF23160
	ds_read_b64_tr_b8 a[88:89], v9 offset:1024                 // 0000000050D0: DBC40400 58000009
	ds_read_b64_tr_b8 a[90:91], v10 offset:1024                // 0000000050D8: DBC40400 5A00000A
	ds_read_b64_tr_b8 a[92:93], v9 offset:19456                // 0000000050E0: DBC44C00 5C000009
	ds_read_b64_tr_b8 a[94:95], v10 offset:19456               // 0000000050E8: DBC44C00 5E00000A
	ds_read_b64_tr_b8 a[96:97], v11 offset:1024                // 0000000050F0: DBC40400 6000000B
	ds_read_b64_tr_b8 a[98:99], v12 offset:1024                // 0000000050F8: DBC40400 6200000C
	ds_read_b64_tr_b8 a[100:101], v11 offset:19456             // 000000005100: DBC44C00 6400000B
	ds_read_b64_tr_b8 a[102:103], v12 offset:19456             // 000000005108: DBC44C00 6600000C
	v_mul_f32_e32 v109, v21, v109                              // 000000005110: 0ADADB15
	v_mul_f32_e32 v110, v21, v110                              // 000000005114: 0ADCDD15
	v_mul_f32_e32 v111, v21, v111                              // 000000005118: 0ADEDF15
	v_mul_f32_e32 v112, v21, v112                              // 00000000511C: 0AE0E115
	v_mul_f32_e32 v113, v21, v113                              // 000000005120: 0AE2E315
	v_mul_f32_e32 v114, v21, v114                              // 000000005124: 0AE4E515
	v_mul_f32_e32 v115, v21, v115                              // 000000005128: 0AE6E715
	v_mul_f32_e32 v116, v21, v116                              // 00000000512C: 0AE8E915
	v_mul_f32_e32 v117, v21, v117                              // 000000005130: 0AEAEB15
	v_mul_f32_e32 v118, v21, v118                              // 000000005134: 0AECED15
	v_mul_f32_e32 v119, v21, v119                              // 000000005138: 0AEEEF15
	v_mul_f32_e32 v120, v21, v120                              // 00000000513C: 0AF0F115
	v_mfma_f32_32x32x64_f8f6f4 v[60:75], a[104:111], a[32:39], v[60:75]// 000000005140: D3AE003C 1CF24168
	buffer_load_dwordx4 v217, s[20:23], 0 offen offset:384 lds // 000000005148: E05D1180 800500D9
	s_add_i32 m0, m0, 0x3c0                                    // 000000005150: 817CFF7C 000003C0
	v_mul_f32_e32 v121, v21, v121                              // 000000005158: 0AF2F315
	v_mul_f32_e32 v122, v21, v122                              // 00000000515C: 0AF4F515
	v_mul_f32_e32 v123, v21, v123                              // 000000005160: 0AF6F715
	v_mul_f32_e32 v124, v21, v124                              // 000000005164: 0AF8F915
	v_mul_f32_e32 v125, v21, v125                              // 000000005168: 0AFAFB15
	v_mul_f32_e32 v126, v21, v126                              // 00000000516C: 0AFCFD15
	v_mul_f32_e32 v127, v21, v127                              // 000000005170: 0AFEFF15
	v_mul_f32_e32 v128, v21, v128                              // 000000005174: 0B010115
	v_mul_f32_e32 v129, v21, v129                              // 000000005178: 0B030315
	v_mul_f32_e32 v130, v21, v130                              // 00000000517C: 0B050515
	v_mul_f32_e32 v131, v21, v131                              // 000000005180: 0B070715
	v_mul_f32_e32 v132, v21, v132                              // 000000005184: 0B090915
	v_mfma_f32_32x32x64_f8f6f4 v[60:75], a[112:119], a[40:47], v[60:75]// 000000005188: D3AE003C 1CF25170
	s_waitcnt lgkmcnt(0)                                       // 000000005190: BF8CC07F
	ds_read_b64_tr_b8 a[104:105], v9 offset:2048               // 000000005194: DBC40800 68000009
	ds_read_b64_tr_b8 a[106:107], v10 offset:2048              // 00000000519C: DBC40800 6A00000A
	ds_read_b64_tr_b8 a[108:109], v9 offset:20480              // 0000000051A4: DBC45000 6C000009
	ds_read_b64_tr_b8 a[110:111], v10 offset:20480             // 0000000051AC: DBC45000 6E00000A
	ds_read_b64_tr_b8 a[112:113], v11 offset:2048              // 0000000051B4: DBC40800 7000000B
	ds_read_b64_tr_b8 a[114:115], v12 offset:2048              // 0000000051BC: DBC40800 7200000C
	ds_read_b64_tr_b8 a[116:117], v11 offset:20480             // 0000000051C4: DBC45000 7400000B
	ds_read_b64_tr_b8 a[118:119], v12 offset:20480             // 0000000051CC: DBC45000 7600000C
	v_mul_f32_e32 v133, v21, v133                              // 0000000051D4: 0B0B0B15
	v_mul_f32_e32 v134, v21, v134                              // 0000000051D8: 0B0D0D15
	v_mul_f32_e32 v135, v21, v135                              // 0000000051DC: 0B0F0F15
	v_mul_f32_e32 v136, v21, v136                              // 0000000051E0: 0B111115
	v_mul_f32_e32 v137, v21, v137                              // 0000000051E4: 0B131315
	v_mul_f32_e32 v138, v21, v138                              // 0000000051E8: 0B151515
	v_mul_f32_e32 v139, v21, v139                              // 0000000051EC: 0B171715
	v_mfma_f32_32x32x64_f8f6f4 v[60:75], a[120:127], a[48:55], v[60:75]// 0000000051F0: D3AE003C 1CF26178
	buffer_load_dwordx4 v217, s[20:23], 0 offen offset:448 lds // 0000000051F8: E05D11C0 800500D9
	s_add_i32 m0, m0, 0x3c0                                    // 000000005200: 817CFF7C 000003C0
	v_permlane32_swap_b32_e32 v44, v46                         // 000000005208: 7E58B52E
	v_permlane32_swap_b32_e32 v45, v47                         // 00000000520C: 7E5AB52F
	v_swap_b32 v45, v46                                        // 000000005210: 7E5AA32E
	v_permlane32_swap_b32_e32 v48, v50                         // 000000005214: 7E60B532
	v_permlane32_swap_b32_e32 v49, v51                         // 000000005218: 7E62B533
	v_swap_b32 v49, v50                                        // 00000000521C: 7E62A332
	v_mfma_f32_32x32x64_f8f6f4 v[60:75], a[128:135], a[56:63], v[60:75]// 000000005220: D3AE003C 1CF27180
	ds_read_b64_tr_b8 a[120:121], v9 offset:3072               // 000000005228: DBC40C00 78000009
	ds_read_b64_tr_b8 a[122:123], v10 offset:3072              // 000000005230: DBC40C00 7A00000A
	ds_read_b64_tr_b8 a[124:125], v9 offset:21504              // 000000005238: DBC45400 7C000009
	ds_read_b64_tr_b8 a[126:127], v10 offset:21504             // 000000005240: DBC45400 7E00000A
	ds_read_b64_tr_b8 a[128:129], v11 offset:3072              // 000000005248: DBC40C00 8000000B
	ds_read_b64_tr_b8 a[130:131], v12 offset:3072              // 000000005250: DBC40C00 8200000C
	ds_read_b64_tr_b8 a[132:133], v11 offset:21504             // 000000005258: DBC45400 8400000B
	ds_read_b64_tr_b8 a[134:135], v12 offset:21504             // 000000005260: DBC45400 8600000C
	v_mov_b32_e32 v36, v21                                     // 000000005268: 7E480315
	v_mov_b32_e32 v37, v21                                     // 00000000526C: 7E4A0315
	v_pk_mul_f32 v[140:141], v[36:37], v[140:141]              // 000000005270: D3B1408C 18031924
	v_pk_mul_f32 v[142:143], v[36:37], v[142:143]              // 000000005278: D3B1408E 18031D24
	v_pk_mul_f32 v[144:145], v[36:37], v[144:145]              // 000000005280: D3B14090 18032124
	v_pk_mul_f32 v[146:147], v[36:37], v[146:147]              // 000000005288: D3B14092 18032524
	v_pk_mul_f32 v[148:149], v[36:37], v[148:149]              // 000000005290: D3B14094 18032924
	v_pk_mul_f32 v[150:151], v[36:37], v[150:151]              // 000000005298: D3B14096 18032D24
	v_pk_mul_f32 v[152:153], v[36:37], v[152:153]              // 0000000052A0: D3B14098 18033124
	v_pk_mul_f32 v[154:155], v[36:37], v[154:155]              // 0000000052A8: D3B1409A 18033524
	v_pk_mul_f32 v[156:157], v[36:37], v[156:157]              // 0000000052B0: D3B1409C 18033924
	v_pk_mul_f32 v[158:159], v[36:37], v[158:159]              // 0000000052B8: D3B1409E 18033D24
	v_pk_mul_f32 v[160:161], v[36:37], v[160:161]              // 0000000052C0: D3B140A0 18034124
	v_pk_mul_f32 v[162:163], v[36:37], v[162:163]              // 0000000052C8: D3B140A2 18034524
	v_pk_mul_f32 v[164:165], v[36:37], v[164:165]              // 0000000052D0: D3B140A4 18034924
	v_pk_mul_f32 v[166:167], v[36:37], v[166:167]              // 0000000052D8: D3B140A6 18034D24
	v_pk_mul_f32 v[168:169], v[36:37], v[168:169]              // 0000000052E0: D3B140A8 18035124
	v_pk_mul_f32 v[170:171], v[36:37], v[170:171]              // 0000000052E8: D3B140AA 18035524
	v_pk_mul_f32 v[172:173], v[36:37], v[172:173]              // 0000000052F0: D3B140AC 18035924
	v_pk_mul_f32 v[174:175], v[36:37], v[174:175]              // 0000000052F8: D3B140AE 18035D24
	v_pk_mul_f32 v[176:177], v[36:37], v[176:177]              // 000000005300: D3B140B0 18036124
	v_pk_mul_f32 v[178:179], v[36:37], v[178:179]              // 000000005308: D3B140B2 18036524
	v_pk_mul_f32 v[180:181], v[36:37], v[180:181]              // 000000005310: D3B140B4 18036924
	v_pk_mul_f32 v[182:183], v[36:37], v[182:183]              // 000000005318: D3B140B6 18036D24
	v_pk_mul_f32 v[184:185], v[36:37], v[184:185]              // 000000005320: D3B140B8 18037124
	v_pk_mul_f32 v[186:187], v[36:37], v[186:187]              // 000000005328: D3B140BA 18037524
	v_pk_mul_f32 v[188:189], v[36:37], v[188:189]              // 000000005330: D3B140BC 18037924
	v_pk_mul_f32 v[190:191], v[36:37], v[190:191]              // 000000005338: D3B140BE 18037D24
	v_pk_mul_f32 v[192:193], v[36:37], v[192:193]              // 000000005340: D3B140C0 18038124
	v_pk_mul_f32 v[194:195], v[36:37], v[194:195]              // 000000005348: D3B140C2 18038524
	v_pk_mul_f32 v[196:197], v[36:37], v[196:197]              // 000000005350: D3B140C4 18038924
	v_pk_mul_f32 v[198:199], v[36:37], v[198:199]              // 000000005358: D3B140C6 18038D24
	v_pk_mul_f32 v[200:201], v[36:37], v[200:201]              // 000000005360: D3B140C8 18039124
	v_pk_mul_f32 v[202:203], v[36:37], v[202:203]              // 000000005368: D3B140CA 18039524
	v_mfma_f32_32x32x64_f8f6f4 v[60:75], a[136:143], a[64:71], v[60:75]// 000000005370: D3AE003C 1CF28188
	buffer_load_dwordx4 v217, s[20:23], 0 offen offset:512 lds // 000000005378: E05D1200 800500D9
	s_add_i32 m0, m0, 0x3c0                                    // 000000005380: 817CFF7C 000003C0
	s_addk_i32 s70, 0x1                                        // 000000005388: B7460001
	s_cmp_lt_i32 s70, s71                                      // 00000000538C: BF044746
	s_cbranch_scc0 label_2F98                                  // 000000005390: BF840001
	s_branch label_12C4                                        // 000000005394: BF82F8CB

0000000000005398 <label_2F98>:
	s_nop 0                                                    // 000000005398: BF800000
	s_nop 0                                                    // 00000000539C: BF800000
	s_branch label_4E50                                        // 0000000053A0: BF8207AB

00000000000053a4 <label_2FA4>:
	v_mul_u32_u24_e64 v217, v30, s68                           // 0000000053A4: D10800D9 0000891E
	v_add_u32_e32 v217, v217, v1                               // 0000000053AC: 69B203D9
	s_waitcnt vmcnt(10)                                        // 0000000053B0: BF8C0F7A
	s_barrier                                                  // 0000000053B4: BF8A0000
	s_waitcnt lgkmcnt(8)                                       // 0000000053B8: BF8CC87F
	v_mfma_f32_32x32x64_f8f6f4 v[76:91], a[72:79], v[44:51], v[76:91]// 0000000053BC: D3AE004C 0D325948
	v_mov_b32_e32 v213, v60                                    // 0000000053C4: 7FAA033C
	v_max3_f32 v213, v60, v61, v213                            // 0000000053C8: D1D300D5 07567B3C
	v_max3_f32 v213, v62, v63, v213                            // 0000000053D0: D1D300D5 07567F3E
	v_max3_f32 v213, v64, v65, v213                            // 0000000053D8: D1D300D5 07568340
	v_max3_f32 v213, v66, v67, v213                            // 0000000053E0: D1D300D5 07568742
	v_max3_f32 v213, v68, v69, v213                            // 0000000053E8: D1D300D5 07568B44
	v_max3_f32 v213, v70, v71, v213                            // 0000000053F0: D1D300D5 07568F46
	v_max3_f32 v213, v72, v73, v213                            // 0000000053F8: D1D300D5 07569348
	v_max3_f32 v213, v74, v75, v213                            // 000000005400: D1D300D5 0756974A
	v_mov_b32_e32 v35, v213                                    // 000000005408: 7E4603D5
	v_mov_b32_e32 v36, v213                                    // 00000000540C: 7E4803D5
	s_nop 0                                                    // 000000005410: BF800000
	ds_read_b128 a[72:75], v28                                 // 000000005414: DBFE0000 4800001C
	ds_read_b128 a[76:79], v29                                 // 00000000541C: DBFE0000 4C00001D
	v_mfma_f32_32x32x64_f8f6f4 v[92:107], a[80:87], v[44:51], v[92:107]// 000000005424: D3AE005C 0D725950
	v_permlane32_swap_b32_e32 v35, v36                         // 00000000542C: 7E46B524
	v_max3_f32 v213, v35, v36, v213                            // 000000005430: D1D300D5 07564923
	ds_write_b32 v41, v213                                     // 000000005438: D81A0000 0000D529
	s_mov_b32 s56, 0xb000                                      // 000000005440: BEB800FF 0000B000
	s_mul_i32 s57, s7, 0x2400                                  // 000000005448: 9239FF07 00002400
	s_add_u32 m0, s56, s57                                     // 000000005450: 807C3938
	buffer_load_dwordx4 v217, s[20:23], 0 offen lds            // 000000005454: E05D1000 800500D9
	s_add_i32 m0, m0, 0x3c0                                    // 00000000545C: 817CFF7C 000003C0
	buffer_load_dwordx4 v217, s[20:23], 0 offen offset:64 lds  // 000000005464: E05D1040 800500D9
	s_add_i32 m0, m0, 0x3c0                                    // 00000000546C: 817CFF7C 000003C0
	s_waitcnt lgkmcnt(0)                                       // 000000005474: BF8CC07F
	s_barrier                                                  // 000000005478: BF8A0000
	v_mfma_f32_32x32x64_f8f6f4 v[108:123], a[88:95], v[44:51], v[108:123]// 00000000547C: D3AE006C 0DB25958
	ds_read_b32 v35, v40                                       // 000000005484: D86C0000 23000028
	ds_read_b32 v36, v40 offset:256                            // 00000000548C: D86C0100 24000028
	s_waitcnt lgkmcnt(0)                                       // 000000005494: BF8CC07F
	v_max3_f32 v213, v35, v36, v213                            // 000000005498: D1D300D5 07564923
	v_mov_b32_e32 v35, 0xff800000                              // 0000000054A0: 7E4602FF FF800000
	v_cmp_eq_u32_e64 s[36:37], v35, v2                         // 0000000054A8: D0CA0024 00020523
	v_max_f32_e32 v216, v213, v2                               // 0000000054B0: 17B005D5
	v_sub_f32_e32 v21, v2, v216                                // 0000000054B4: 042BB102
	v_cndmask_b32_e64 v21, v21, 0, s[36:37]                    // 0000000054B8: D1000015 00910115
	v_mfma_f32_32x32x64_f8f6f4 v[124:139], a[96:103], v[44:51], v[124:139]// 0000000054C0: D3AE007C 0DF25960
	ds_read_b128 a[80:83], v28 offset:1024                     // 0000000054C8: DBFE0400 5000001C
	ds_read_b128 a[84:87], v29 offset:1024                     // 0000000054D0: DBFE0400 5400001D
	ds_read_b128 a[88:91], v28 offset:2048                     // 0000000054D8: DBFE0800 5800001C
	ds_read_b128 a[92:95], v29 offset:2048                     // 0000000054E0: DBFE0800 5C00001D
	ds_read_b128 a[96:99], v28 offset:3072                     // 0000000054E8: DBFE0C00 6000001C
	ds_read_b128 a[100:103], v29 offset:3072                   // 0000000054F0: DBFE0C00 6400001D
	v_mov_b32_e32 v2, v216                                     // 0000000054F8: 7E0403D8
	v_mul_f32_e32 v212, s5, v216                               // 0000000054FC: 0BA9B005
	v_mul_f32_e32 v21, s5, v21                                 // 000000005500: 0A2A2A05
	v_exp_f32_e32 v21, v21                                     // 000000005504: 7E2A4115
	v_fma_f32 v60, v60, s5, -v212                              // 000000005508: D1CB003C 87500B3C
	v_fma_f32 v61, v61, s5, -v212                              // 000000005510: D1CB003D 87500B3D
	v_fma_f32 v62, v62, s5, -v212                              // 000000005518: D1CB003E 87500B3E
	v_fma_f32 v63, v63, s5, -v212                              // 000000005520: D1CB003F 87500B3F
	v_fma_f32 v64, v64, s5, -v212                              // 000000005528: D1CB0040 87500B40
	v_mfma_f32_32x32x64_f8f6f4 v[140:155], a[104:111], v[44:51], v[140:155]// 000000005530: D3AE008C 0E325968
	buffer_load_dwordx4 v217, s[20:23], 0 offen offset:128 lds // 000000005538: E05D1080 800500D9
	s_add_i32 m0, m0, 0x3c0                                    // 000000005540: 817CFF7C 000003C0
	v_fma_f32 v65, v65, s5, -v212                              // 000000005548: D1CB0041 87500B41
	v_fma_f32 v66, v66, s5, -v212                              // 000000005550: D1CB0042 87500B42
	v_fma_f32 v67, v67, s5, -v212                              // 000000005558: D1CB0043 87500B43
	v_fma_f32 v68, v68, s5, -v212                              // 000000005560: D1CB0044 87500B44
	v_fma_f32 v69, v69, s5, -v212                              // 000000005568: D1CB0045 87500B45
	v_fma_f32 v70, v70, s5, -v212                              // 000000005570: D1CB0046 87500B46
	v_fma_f32 v71, v71, s5, -v212                              // 000000005578: D1CB0047 87500B47
	v_fma_f32 v72, v72, s5, -v212                              // 000000005580: D1CB0048 87500B48
	v_fma_f32 v73, v73, s5, -v212                              // 000000005588: D1CB0049 87500B49
	v_fma_f32 v74, v74, s5, -v212                              // 000000005590: D1CB004A 87500B4A
	v_fma_f32 v75, v75, s5, -v212                              // 000000005598: D1CB004B 87500B4B
	v_exp_f32_e32 v60, v60                                     // 0000000055A0: 7E78413C
	v_exp_f32_e32 v61, v61                                     // 0000000055A4: 7E7A413D
	v_mfma_f32_32x32x64_f8f6f4 v[156:171], a[112:119], v[44:51], v[156:171]// 0000000055A8: D3AE009C 0E725970
	ds_read_b128 a[104:107], v28 offset:4096                   // 0000000055B0: DBFE1000 6800001C
	ds_read_b128 a[108:111], v29 offset:4096                   // 0000000055B8: DBFE1000 6C00001D
	ds_read_b128 a[112:115], v28 offset:5120                   // 0000000055C0: DBFE1400 7000001C
	ds_read_b128 a[116:119], v29 offset:5120                   // 0000000055C8: DBFE1400 7400001D
	ds_read_b128 a[120:123], v28 offset:6144                   // 0000000055D0: DBFE1800 7800001C
	ds_read_b128 a[124:127], v29 offset:6144                   // 0000000055D8: DBFE1800 7C00001D
	v_exp_f32_e32 v62, v62                                     // 0000000055E0: 7E7C413E
	v_exp_f32_e32 v63, v63                                     // 0000000055E4: 7E7E413F
	v_exp_f32_e32 v64, v64                                     // 0000000055E8: 7E804140
	v_exp_f32_e32 v65, v65                                     // 0000000055EC: 7E824141
	v_exp_f32_e32 v66, v66                                     // 0000000055F0: 7E844142
	v_mfma_f32_32x32x64_f8f6f4 v[172:187], a[120:127], v[44:51], v[172:187]// 0000000055F4: D3AE00AC 0EB25978
	buffer_load_dwordx4 v217, s[20:23], 0 offen offset:192 lds // 0000000055FC: E05D10C0 800500D9
	s_add_i32 m0, m0, 0x3c0                                    // 000000005604: 817CFF7C 000003C0
	v_exp_f32_e32 v67, v67                                     // 00000000560C: 7E864143
	v_exp_f32_e32 v68, v68                                     // 000000005610: 7E884144
	v_exp_f32_e32 v69, v69                                     // 000000005614: 7E8A4145
	v_exp_f32_e32 v70, v70                                     // 000000005618: 7E8C4146
	v_exp_f32_e32 v71, v71                                     // 00000000561C: 7E8E4147
	v_exp_f32_e32 v72, v72                                     // 000000005620: 7E904148
	v_exp_f32_e32 v73, v73                                     // 000000005624: 7E924149
	v_mfma_f32_32x32x64_f8f6f4 v[188:203], a[128:135], v[44:51], v[188:203]// 000000005628: D3AE00BC 0EF25980
	v_exp_f32_e32 v74, v74                                     // 000000005630: 7E94414A
	v_exp_f32_e32 v75, v75                                     // 000000005634: 7E96414B
	v_mul_f32_e32 v4, v21, v4                                  // 000000005638: 0A080915
	v_mov_b32_e32 v35, v60                                     // 00000000563C: 7E46033C
	v_add_f32_e32 v35, v61, v35                                // 000000005640: 0246473D
	v_add_f32_e32 v35, v62, v35                                // 000000005644: 0246473E
	v_add_f32_e32 v35, v63, v35                                // 000000005648: 0246473F
	v_add_f32_e32 v35, v64, v35                                // 00000000564C: 02464740
	ds_read_b128 a[128:131], v28 offset:7168                   // 000000005650: DBFE1C00 8000001C
	ds_read_b128 a[132:135], v29 offset:7168                   // 000000005658: DBFE1C00 8400001D
	ds_read_b128 a[136:139], v28 offset:8192                   // 000000005660: DBFE2000 8800001C
	ds_read_b128 a[140:143], v29 offset:8192                   // 000000005668: DBFE2000 8C00001D
	v_add_f32_e32 v35, v65, v35                                // 000000005670: 02464741
	v_add_f32_e32 v35, v66, v35                                // 000000005674: 02464742
	;; [unrolled: 1-line block ×3, first 2 shown]
	v_add_f32_e32 v35, v68, v35                                // 00000000567C: 02464744
	v_add_f32_e32 v35, v69, v35                                // 000000005680: 02464745
	v_add_f32_e32 v35, v70, v35                                // 000000005684: 02464746
	;; [unrolled: 1-line block ×3, first 2 shown]
	v_add_f32_e32 v35, v72, v35                                // 00000000568C: 02464748
	v_add_f32_e32 v35, v73, v35                                // 000000005690: 02464749
	v_add_f32_e32 v35, v74, v35                                // 000000005694: 0246474A
	v_add_f32_e32 v35, v75, v35                                // 000000005698: 0246474B
	v_add_f32_e32 v4, v35, v4                                  // 00000000569C: 02080923
	v_cvt_pk_fp8_f32 v60, v60, v61                             // 0000000056A0: D2A2003C 00027B3C
	v_cvt_pk_fp8_f32 v60, v62, v63 op_sel:[0,0,1]              // 0000000056A8: D2A2403C 00027F3E
	v_cvt_pk_fp8_f32 v61, v64, v65                             // 0000000056B0: D2A2003D 00028340
	v_cvt_pk_fp8_f32 v61, v66, v67 op_sel:[0,0,1]              // 0000000056B8: D2A2403D 00028742
	v_cvt_pk_fp8_f32 v62, v68, v69                             // 0000000056C0: D2A2003E 00028B44
	v_cvt_pk_fp8_f32 v62, v70, v71 op_sel:[0,0,1]              // 0000000056C8: D2A2403E 00028F46
	v_cvt_pk_fp8_f32 v63, v72, v73                             // 0000000056D0: D2A2003F 00029348
	v_cvt_pk_fp8_f32 v63, v74, v75 op_sel:[0,0,1]              // 0000000056D8: D2A2403F 0002974A
	s_waitcnt lgkmcnt(8)                                       // 0000000056E0: BF8CC87F
	v_mfma_f32_32x32x64_f8f6f4 v[44:59], a[72:79], a[0:7], 0   // 0000000056E4: D3AE002C 1A020148
	ds_write_b128 v43, v[60:63] offset:1024                    // 0000000056EC: D9BE0400 00003C2B
	v_mul_f32_e32 v76, v21, v76                                // 0000000056F4: 0A989915
	v_mul_f32_e32 v77, v21, v77                                // 0000000056F8: 0A9A9B15
	v_mul_f32_e32 v78, v21, v78                                // 0000000056FC: 0A9C9D15
	v_mul_f32_e32 v79, v21, v79                                // 000000005700: 0A9E9F15
	v_mul_f32_e32 v80, v21, v80                                // 000000005704: 0AA0A115
	v_mul_f32_e32 v81, v21, v81                                // 000000005708: 0AA2A315
	v_mul_f32_e32 v82, v21, v82                                // 00000000570C: 0AA4A515
	v_mul_f32_e32 v83, v21, v83                                // 000000005710: 0AA6A715
	v_mul_f32_e32 v84, v21, v84                                // 000000005714: 0AA8A915
	v_mul_f32_e32 v85, v21, v85                                // 000000005718: 0AAAAB15
	v_mul_f32_e32 v86, v21, v86                                // 00000000571C: 0AACAD15
	v_mul_f32_e32 v87, v21, v87                                // 000000005720: 0AAEAF15
	v_mul_f32_e32 v88, v21, v88                                // 000000005724: 0AB0B115
	v_mul_f32_e32 v89, v21, v89                                // 000000005728: 0AB2B315
	v_mfma_f32_32x32x64_f8f6f4 v[44:59], a[80:87], a[8:15], v[44:59]// 00000000572C: D3AE002C 1CB21150
	buffer_load_dword v32, v34, s[24:27], 0 offen              // 000000005734: E0501000 80062022
	buffer_load_dwordx4 v217, s[20:23], 0 offen offset:256 lds // 00000000573C: E05D1100 800500D9
	s_add_i32 m0, m0, 0x3c0                                    // 000000005744: 817CFF7C 000003C0
	v_mul_f32_e32 v90, v21, v90                                // 00000000574C: 0AB4B515
	v_mul_f32_e32 v91, v21, v91                                // 000000005750: 0AB6B715
	v_mul_f32_e32 v92, v21, v92                                // 000000005754: 0AB8B915
	v_mul_f32_e32 v93, v21, v93                                // 000000005758: 0ABABB15
	v_mul_f32_e32 v94, v21, v94                                // 00000000575C: 0ABCBD15
	v_mul_f32_e32 v95, v21, v95                                // 000000005760: 0ABEBF15
	v_mov_b32_e32 v36, v21                                     // 000000005764: 7E480315
	v_mov_b32_e32 v37, v21                                     // 000000005768: 7E4A0315
	v_pk_mul_f32 v[140:141], v[36:37], v[140:141]              // 00000000576C: D3B1408C 18031924
	v_pk_mul_f32 v[142:143], v[36:37], v[142:143]              // 000000005774: D3B1408E 18031D24
	s_waitcnt lgkmcnt(0)                                       // 00000000577C: BF8CC07F
	s_barrier                                                  // 000000005780: BF8A0000
	v_mfma_f32_32x32x64_f8f6f4 v[44:59], a[88:95], a[16:23], v[44:59]// 000000005784: D3AE002C 1CB22158
	ds_read_b128 v[60:63], v42 offset:1024                     // 00000000578C: D9FE0400 3C00002A
	ds_read_b128 v[64:67], v42 offset:2048                     // 000000005794: D9FE0800 4000002A
	ds_read_b64_tr_b8 a[72:73], v13                            // 00000000579C: DBC40000 4800000D
	ds_read_b64_tr_b8 a[74:75], v14                            // 0000000057A4: DBC40000 4A00000E
	ds_read_b64_tr_b8 a[76:77], v13 offset:18432               // 0000000057AC: DBC44800 4C00000D
	ds_read_b64_tr_b8 a[78:79], v14 offset:18432               // 0000000057B4: DBC44800 4E00000E
	ds_read_b64_tr_b8 a[80:81], v15                            // 0000000057BC: DBC40000 5000000F
	ds_read_b64_tr_b8 a[82:83], v16                            // 0000000057C4: DBC40000 52000010
	ds_read_b64_tr_b8 a[84:85], v15 offset:18432               // 0000000057CC: DBC44800 5400000F
	ds_read_b64_tr_b8 a[86:87], v16 offset:18432               // 0000000057D4: DBC44800 56000010
	v_mul_f32_e32 v96, v21, v96                                // 0000000057DC: 0AC0C115
	v_mul_f32_e32 v97, v21, v97                                // 0000000057E0: 0AC2C315
	v_mul_f32_e32 v98, v21, v98                                // 0000000057E4: 0AC4C515
	v_mul_f32_e32 v99, v21, v99                                // 0000000057E8: 0AC6C715
	v_mul_f32_e32 v100, v21, v100                              // 0000000057EC: 0AC8C915
	v_mul_f32_e32 v101, v21, v101                              // 0000000057F0: 0ACACB15
	v_mul_f32_e32 v102, v21, v102                              // 0000000057F4: 0ACCCD15
	v_mul_f32_e32 v103, v21, v103                              // 0000000057F8: 0ACECF15
	v_mul_f32_e32 v104, v21, v104                              // 0000000057FC: 0AD0D115
	v_mul_f32_e32 v105, v21, v105                              // 000000005800: 0AD2D315
	v_mul_f32_e32 v106, v21, v106                              // 000000005804: 0AD4D515
	v_mul_f32_e32 v107, v21, v107                              // 000000005808: 0AD6D715
	v_add_u32_e32 v34, s73, v34                                // 00000000580C: 68444449
	v_mfma_f32_32x32x64_f8f6f4 v[44:59], a[96:103], a[24:31], v[44:59]// 000000005810: D3AE002C 1CB23160
	buffer_load_dwordx4 v217, s[20:23], 0 offen offset:320 lds // 000000005818: E05D1140 800500D9
	s_add_i32 m0, m0, 0x3c0                                    // 000000005820: 817CFF7C 000003C0
	v_mul_f32_e32 v108, v21, v108                              // 000000005828: 0AD8D915
	v_mul_f32_e32 v109, v21, v109                              // 00000000582C: 0ADADB15
	v_mul_f32_e32 v110, v21, v110                              // 000000005830: 0ADCDD15
	v_mul_f32_e32 v111, v21, v111                              // 000000005834: 0ADEDF15
	v_mul_f32_e32 v112, v21, v112                              // 000000005838: 0AE0E115
	v_mul_f32_e32 v113, v21, v113                              // 00000000583C: 0AE2E315
	v_mul_f32_e32 v114, v21, v114                              // 000000005840: 0AE4E515
	v_mul_f32_e32 v115, v21, v115                              // 000000005844: 0AE6E715
	v_mul_f32_e32 v116, v21, v116                              // 000000005848: 0AE8E915
	v_mul_f32_e32 v117, v21, v117                              // 00000000584C: 0AEAEB15
	v_mul_f32_e32 v118, v21, v118                              // 000000005850: 0AECED15
	v_mul_f32_e32 v119, v21, v119                              // 000000005854: 0AEEEF15
	v_mfma_f32_32x32x64_f8f6f4 v[44:59], a[104:111], a[32:39], v[44:59]// 000000005858: D3AE002C 1CB24168
	ds_read_b64_tr_b8 a[88:89], v13 offset:1024                // 000000005860: DBC40400 5800000D
	ds_read_b64_tr_b8 a[90:91], v14 offset:1024                // 000000005868: DBC40400 5A00000E
	ds_read_b64_tr_b8 a[92:93], v13 offset:19456               // 000000005870: DBC44C00 5C00000D
	ds_read_b64_tr_b8 a[94:95], v14 offset:19456               // 000000005878: DBC44C00 5E00000E
	ds_read_b64_tr_b8 a[96:97], v15 offset:1024                // 000000005880: DBC40400 6000000F
	ds_read_b64_tr_b8 a[98:99], v16 offset:1024                // 000000005888: DBC40400 62000010
	ds_read_b64_tr_b8 a[100:101], v15 offset:19456             // 000000005890: DBC44C00 6400000F
	ds_read_b64_tr_b8 a[102:103], v16 offset:19456             // 000000005898: DBC44C00 66000010
	v_mul_f32_e32 v120, v21, v120                              // 0000000058A0: 0AF0F115
	v_mul_f32_e32 v121, v21, v121                              // 0000000058A4: 0AF2F315
	v_mul_f32_e32 v122, v21, v122                              // 0000000058A8: 0AF4F515
	v_mul_f32_e32 v123, v21, v123                              // 0000000058AC: 0AF6F715
	v_mul_f32_e32 v124, v21, v124                              // 0000000058B0: 0AF8F915
	v_mul_f32_e32 v125, v21, v125                              // 0000000058B4: 0AFAFB15
	v_mul_f32_e32 v126, v21, v126                              // 0000000058B8: 0AFCFD15
	v_mul_f32_e32 v127, v21, v127                              // 0000000058BC: 0AFEFF15
	v_mul_f32_e32 v128, v21, v128                              // 0000000058C0: 0B010115
	v_mul_f32_e32 v129, v21, v129                              // 0000000058C4: 0B030315
	v_mul_f32_e32 v130, v21, v130                              // 0000000058C8: 0B050515
	v_mul_f32_e32 v131, v21, v131                              // 0000000058CC: 0B070715
	v_mfma_f32_32x32x64_f8f6f4 v[44:59], a[112:119], a[40:47], v[44:59]// 0000000058D0: D3AE002C 1CB25170
	s_waitcnt lgkmcnt(0)                                       // 0000000058D8: BF8CC07F
	buffer_load_dwordx4 v217, s[20:23], 0 offen offset:384 lds // 0000000058DC: E05D1180 800500D9
	s_add_i32 m0, m0, 0x3c0                                    // 0000000058E4: 817CFF7C 000003C0
	v_mul_f32_e32 v132, v21, v132                              // 0000000058EC: 0B090915
	v_mul_f32_e32 v133, v21, v133                              // 0000000058F0: 0B0B0B15
	v_mul_f32_e32 v134, v21, v134                              // 0000000058F4: 0B0D0D15
	v_mul_f32_e32 v135, v21, v135                              // 0000000058F8: 0B0F0F15
	v_mul_f32_e32 v136, v21, v136                              // 0000000058FC: 0B111115
	v_mul_f32_e32 v137, v21, v137                              // 000000005900: 0B131315
	v_mul_f32_e32 v138, v21, v138                              // 000000005904: 0B151515
	v_mul_f32_e32 v139, v21, v139                              // 000000005908: 0B171715
	v_mfma_f32_32x32x64_f8f6f4 v[44:59], a[120:127], a[48:55], v[44:59]// 00000000590C: D3AE002C 1CB26178
	ds_read_b64_tr_b8 a[104:105], v13 offset:2048              // 000000005914: DBC40800 6800000D
	ds_read_b64_tr_b8 a[106:107], v14 offset:2048              // 00000000591C: DBC40800 6A00000E
	ds_read_b64_tr_b8 a[108:109], v13 offset:20480             // 000000005924: DBC45000 6C00000D
	ds_read_b64_tr_b8 a[110:111], v14 offset:20480             // 00000000592C: DBC45000 6E00000E
	ds_read_b64_tr_b8 a[112:113], v15 offset:2048              // 000000005934: DBC40800 7000000F
	ds_read_b64_tr_b8 a[114:115], v16 offset:2048              // 00000000593C: DBC40800 72000010
	ds_read_b64_tr_b8 a[116:117], v15 offset:20480             // 000000005944: DBC45000 7400000F
	ds_read_b64_tr_b8 a[118:119], v16 offset:20480             // 00000000594C: DBC45000 76000010
	v_permlane32_swap_b32_e32 v60, v62                         // 000000005954: 7E78B53E
	v_permlane32_swap_b32_e32 v61, v63                         // 000000005958: 7E7AB53F
	v_swap_b32 v61, v62                                        // 00000000595C: 7E7AA33E
	v_permlane32_swap_b32_e32 v64, v66                         // 000000005960: 7E80B542
	v_permlane32_swap_b32_e32 v65, v67                         // 000000005964: 7E82B543
	v_swap_b32 v65, v66                                        // 000000005968: 7E82A342
	v_mfma_f32_32x32x64_f8f6f4 v[44:59], a[128:135], a[56:63], v[44:59]// 00000000596C: D3AE002C 1CB27180
	buffer_load_dwordx4 v217, s[20:23], 0 offen offset:448 lds // 000000005974: E05D11C0 800500D9
	s_add_i32 m0, m0, 0x3c0                                    // 00000000597C: 817CFF7C 000003C0
	v_pk_mul_f32 v[144:145], v[36:37], v[144:145]              // 000000005984: D3B14090 18032124
	v_pk_mul_f32 v[146:147], v[36:37], v[146:147]              // 00000000598C: D3B14092 18032524
	v_pk_mul_f32 v[148:149], v[36:37], v[148:149]              // 000000005994: D3B14094 18032924
	v_pk_mul_f32 v[150:151], v[36:37], v[150:151]              // 00000000599C: D3B14096 18032D24
	v_pk_mul_f32 v[152:153], v[36:37], v[152:153]              // 0000000059A4: D3B14098 18033124
	v_pk_mul_f32 v[154:155], v[36:37], v[154:155]              // 0000000059AC: D3B1409A 18033524
	v_pk_mul_f32 v[156:157], v[36:37], v[156:157]              // 0000000059B4: D3B1409C 18033924
	v_pk_mul_f32 v[158:159], v[36:37], v[158:159]              // 0000000059BC: D3B1409E 18033D24
	v_pk_mul_f32 v[160:161], v[36:37], v[160:161]              // 0000000059C4: D3B140A0 18034124
	v_pk_mul_f32 v[162:163], v[36:37], v[162:163]              // 0000000059CC: D3B140A2 18034524
	v_pk_mul_f32 v[164:165], v[36:37], v[164:165]              // 0000000059D4: D3B140A4 18034924
	v_pk_mul_f32 v[166:167], v[36:37], v[166:167]              // 0000000059DC: D3B140A6 18034D24
	v_pk_mul_f32 v[168:169], v[36:37], v[168:169]              // 0000000059E4: D3B140A8 18035124
	v_pk_mul_f32 v[170:171], v[36:37], v[170:171]              // 0000000059EC: D3B140AA 18035524
	v_pk_mul_f32 v[172:173], v[36:37], v[172:173]              // 0000000059F4: D3B140AC 18035924
	v_pk_mul_f32 v[174:175], v[36:37], v[174:175]              // 0000000059FC: D3B140AE 18035D24
	v_pk_mul_f32 v[176:177], v[36:37], v[176:177]              // 000000005A04: D3B140B0 18036124
	v_pk_mul_f32 v[178:179], v[36:37], v[178:179]              // 000000005A0C: D3B140B2 18036524
	v_pk_mul_f32 v[180:181], v[36:37], v[180:181]              // 000000005A14: D3B140B4 18036924
	v_pk_mul_f32 v[182:183], v[36:37], v[182:183]              // 000000005A1C: D3B140B6 18036D24
	v_pk_mul_f32 v[184:185], v[36:37], v[184:185]              // 000000005A24: D3B140B8 18037124
	v_pk_mul_f32 v[186:187], v[36:37], v[186:187]              // 000000005A2C: D3B140BA 18037524
	v_pk_mul_f32 v[188:189], v[36:37], v[188:189]              // 000000005A34: D3B140BC 18037924
	v_pk_mul_f32 v[190:191], v[36:37], v[190:191]              // 000000005A3C: D3B140BE 18037D24
	v_pk_mul_f32 v[192:193], v[36:37], v[192:193]              // 000000005A44: D3B140C0 18038124
	v_pk_mul_f32 v[194:195], v[36:37], v[194:195]              // 000000005A4C: D3B140C2 18038524
	v_pk_mul_f32 v[196:197], v[36:37], v[196:197]              // 000000005A54: D3B140C4 18038924
	v_pk_mul_f32 v[198:199], v[36:37], v[198:199]              // 000000005A5C: D3B140C6 18038D24
	v_pk_mul_f32 v[200:201], v[36:37], v[200:201]              // 000000005A64: D3B140C8 18039124
	v_pk_mul_f32 v[202:203], v[36:37], v[202:203]              // 000000005A6C: D3B140CA 18039524
	v_mfma_f32_32x32x64_f8f6f4 v[44:59], a[136:143], a[64:71], v[44:59]// 000000005A74: D3AE002C 1CB28188
	ds_read_b64_tr_b8 a[120:121], v13 offset:3072              // 000000005A7C: DBC40C00 7800000D
	ds_read_b64_tr_b8 a[122:123], v14 offset:3072              // 000000005A84: DBC40C00 7A00000E
	ds_read_b64_tr_b8 a[124:125], v13 offset:21504             // 000000005A8C: DBC45400 7C00000D
	ds_read_b64_tr_b8 a[126:127], v14 offset:21504             // 000000005A94: DBC45400 7E00000E
	ds_read_b64_tr_b8 a[128:129], v15 offset:3072              // 000000005A9C: DBC40C00 8000000F
	ds_read_b64_tr_b8 a[130:131], v16 offset:3072              // 000000005AA4: DBC40C00 82000010
	ds_read_b64_tr_b8 a[132:133], v15 offset:21504             // 000000005AAC: DBC45400 8400000F
	ds_read_b64_tr_b8 a[134:135], v16 offset:21504             // 000000005AB4: DBC45400 86000010
	buffer_load_dwordx4 v217, s[20:23], 0 offen offset:512 lds // 000000005ABC: E05D1200 800500D9
	s_add_i32 m0, m0, 0x3c0                                    // 000000005AC4: 817CFF7C 000003C0
	s_addk_i32 s70, 0x1                                        // 000000005ACC: B7460001
	s_cmp_lt_i32 s70, s71                                      // 000000005AD0: BF044746
	s_cbranch_scc0 label_2F98                                  // 000000005AD4: BF84FE30
	v_mul_u32_u24_e64 v217, v31, s68                           // 000000005AD8: D10800D9 0000891F
	v_add_u32_e32 v217, v217, v1                               // 000000005AE0: 69B203D9
	s_waitcnt vmcnt(10)                                        // 000000005AE4: BF8C0F7A
	s_barrier                                                  // 000000005AE8: BF8A0000
	s_waitcnt lgkmcnt(8)                                       // 000000005AEC: BF8CC87F
	v_mfma_f32_32x32x64_f8f6f4 v[76:91], a[72:79], v[60:67], v[76:91]// 000000005AF0: D3AE004C 0D327948
	v_mov_b32_e32 v213, v44                                    // 000000005AF8: 7FAA032C
	v_max3_f32 v213, v44, v45, v213                            // 000000005AFC: D1D300D5 07565B2C
	v_max3_f32 v213, v46, v47, v213                            // 000000005B04: D1D300D5 07565F2E
	v_max3_f32 v213, v48, v49, v213                            // 000000005B0C: D1D300D5 07566330
	v_max3_f32 v213, v50, v51, v213                            // 000000005B14: D1D300D5 07566732
	v_max3_f32 v213, v52, v53, v213                            // 000000005B1C: D1D300D5 07566B34
	v_max3_f32 v213, v54, v55, v213                            // 000000005B24: D1D300D5 07566F36
	v_max3_f32 v213, v56, v57, v213                            // 000000005B2C: D1D300D5 07567338
	v_max3_f32 v213, v58, v59, v213                            // 000000005B34: D1D300D5 0756773A
	v_mov_b32_e32 v35, v213                                    // 000000005B3C: 7E4603D5
	v_mov_b32_e32 v36, v213                                    // 000000005B40: 7E4803D5
	s_nop 0                                                    // 000000005B44: BF800000
	ds_read_b128 a[72:75], v22                                 // 000000005B48: DBFE0000 48000016
	ds_read_b128 a[76:79], v23                                 // 000000005B50: DBFE0000 4C000017
	v_mfma_f32_32x32x64_f8f6f4 v[92:107], a[80:87], v[60:67], v[92:107]// 000000005B58: D3AE005C 0D727950
	v_permlane32_swap_b32_e32 v35, v36                         // 000000005B60: 7E46B524
	v_max3_f32 v213, v35, v36, v213                            // 000000005B64: D1D300D5 07564923
	ds_write_b32 v41, v213                                     // 000000005B6C: D81A0000 0000D529
	s_mov_b32 s56, 0x14000                                     // 000000005B74: BEB800FF 00014000
	s_mul_i32 s57, s7, 0x2400                                  // 000000005B7C: 9239FF07 00002400
	s_add_u32 m0, s56, s57                                     // 000000005B84: 807C3938
	buffer_load_dwordx4 v217, s[20:23], 0 offen lds            // 000000005B88: E05D1000 800500D9
	s_add_i32 m0, m0, 0x3c0                                    // 000000005B90: 817CFF7C 000003C0
	buffer_load_dwordx4 v217, s[20:23], 0 offen offset:64 lds  // 000000005B98: E05D1040 800500D9
	s_add_i32 m0, m0, 0x3c0                                    // 000000005BA0: 817CFF7C 000003C0
	s_waitcnt lgkmcnt(0)                                       // 000000005BA8: BF8CC07F
	s_barrier                                                  // 000000005BAC: BF8A0000
	v_mfma_f32_32x32x64_f8f6f4 v[108:123], a[88:95], v[60:67], v[108:123]// 000000005BB0: D3AE006C 0DB27958
	ds_read_b32 v35, v40                                       // 000000005BB8: D86C0000 23000028
	ds_read_b32 v36, v40 offset:256                            // 000000005BC0: D86C0100 24000028
	s_waitcnt lgkmcnt(0)                                       // 000000005BC8: BF8CC07F
	v_max3_f32 v213, v35, v36, v213                            // 000000005BCC: D1D300D5 07564923
	v_mov_b32_e32 v35, 0xff800000                              // 000000005BD4: 7E4602FF FF800000
	v_cmp_eq_u32_e64 s[36:37], v35, v2                         // 000000005BDC: D0CA0024 00020523
	v_max_f32_e32 v216, v213, v2                               // 000000005BE4: 17B005D5
	v_sub_f32_e32 v21, v2, v216                                // 000000005BE8: 042BB102
	v_cndmask_b32_e64 v21, v21, 0, s[36:37]                    // 000000005BEC: D1000015 00910115
	v_mfma_f32_32x32x64_f8f6f4 v[124:139], a[96:103], v[60:67], v[124:139]// 000000005BF4: D3AE007C 0DF27960
	ds_read_b128 a[80:83], v22 offset:1024                     // 000000005BFC: DBFE0400 50000016
	ds_read_b128 a[84:87], v23 offset:1024                     // 000000005C04: DBFE0400 54000017
	ds_read_b128 a[88:91], v22 offset:2048                     // 000000005C0C: DBFE0800 58000016
	ds_read_b128 a[92:95], v23 offset:2048                     // 000000005C14: DBFE0800 5C000017
	ds_read_b128 a[96:99], v22 offset:3072                     // 000000005C1C: DBFE0C00 60000016
	ds_read_b128 a[100:103], v23 offset:3072                   // 000000005C24: DBFE0C00 64000017
	v_mov_b32_e32 v2, v216                                     // 000000005C2C: 7E0403D8
	v_mul_f32_e32 v212, s5, v216                               // 000000005C30: 0BA9B005
	v_mul_f32_e32 v21, s5, v21                                 // 000000005C34: 0A2A2A05
	v_exp_f32_e32 v21, v21                                     // 000000005C38: 7E2A4115
	v_fma_f32 v44, v44, s5, -v212                              // 000000005C3C: D1CB002C 87500B2C
	v_fma_f32 v45, v45, s5, -v212                              // 000000005C44: D1CB002D 87500B2D
	v_fma_f32 v46, v46, s5, -v212                              // 000000005C4C: D1CB002E 87500B2E
	v_fma_f32 v47, v47, s5, -v212                              // 000000005C54: D1CB002F 87500B2F
	v_fma_f32 v48, v48, s5, -v212                              // 000000005C5C: D1CB0030 87500B30
	v_mfma_f32_32x32x64_f8f6f4 v[140:155], a[104:111], v[60:67], v[140:155]// 000000005C64: D3AE008C 0E327968
	buffer_load_dwordx4 v217, s[20:23], 0 offen offset:128 lds // 000000005C6C: E05D1080 800500D9
	s_add_i32 m0, m0, 0x3c0                                    // 000000005C74: 817CFF7C 000003C0
	v_fma_f32 v49, v49, s5, -v212                              // 000000005C7C: D1CB0031 87500B31
	v_fma_f32 v50, v50, s5, -v212                              // 000000005C84: D1CB0032 87500B32
	v_fma_f32 v51, v51, s5, -v212                              // 000000005C8C: D1CB0033 87500B33
	v_fma_f32 v52, v52, s5, -v212                              // 000000005C94: D1CB0034 87500B34
	v_fma_f32 v53, v53, s5, -v212                              // 000000005C9C: D1CB0035 87500B35
	v_fma_f32 v54, v54, s5, -v212                              // 000000005CA4: D1CB0036 87500B36
	v_fma_f32 v55, v55, s5, -v212                              // 000000005CAC: D1CB0037 87500B37
	v_fma_f32 v56, v56, s5, -v212                              // 000000005CB4: D1CB0038 87500B38
	v_fma_f32 v57, v57, s5, -v212                              // 000000005CBC: D1CB0039 87500B39
	v_fma_f32 v58, v58, s5, -v212                              // 000000005CC4: D1CB003A 87500B3A
	v_fma_f32 v59, v59, s5, -v212                              // 000000005CCC: D1CB003B 87500B3B
	v_exp_f32_e32 v44, v44                                     // 000000005CD4: 7E58412C
	v_exp_f32_e32 v45, v45                                     // 000000005CD8: 7E5A412D
	v_mfma_f32_32x32x64_f8f6f4 v[156:171], a[112:119], v[60:67], v[156:171]// 000000005CDC: D3AE009C 0E727970
	ds_read_b128 a[104:107], v22 offset:4096                   // 000000005CE4: DBFE1000 68000016
	ds_read_b128 a[108:111], v23 offset:4096                   // 000000005CEC: DBFE1000 6C000017
	ds_read_b128 a[112:115], v22 offset:5120                   // 000000005CF4: DBFE1400 70000016
	ds_read_b128 a[116:119], v23 offset:5120                   // 000000005CFC: DBFE1400 74000017
	ds_read_b128 a[120:123], v22 offset:6144                   // 000000005D04: DBFE1800 78000016
	ds_read_b128 a[124:127], v23 offset:6144                   // 000000005D0C: DBFE1800 7C000017
	v_exp_f32_e32 v46, v46                                     // 000000005D14: 7E5C412E
	v_exp_f32_e32 v47, v47                                     // 000000005D18: 7E5E412F
	v_exp_f32_e32 v48, v48                                     // 000000005D1C: 7E604130
	v_exp_f32_e32 v49, v49                                     // 000000005D20: 7E624131
	v_exp_f32_e32 v50, v50                                     // 000000005D24: 7E644132
	v_mfma_f32_32x32x64_f8f6f4 v[172:187], a[120:127], v[60:67], v[172:187]// 000000005D28: D3AE00AC 0EB27978
	buffer_load_dwordx4 v217, s[20:23], 0 offen offset:192 lds // 000000005D30: E05D10C0 800500D9
	s_add_i32 m0, m0, 0x3c0                                    // 000000005D38: 817CFF7C 000003C0
	v_exp_f32_e32 v51, v51                                     // 000000005D40: 7E664133
	v_exp_f32_e32 v52, v52                                     // 000000005D44: 7E684134
	v_exp_f32_e32 v53, v53                                     // 000000005D48: 7E6A4135
	v_exp_f32_e32 v54, v54                                     // 000000005D4C: 7E6C4136
	v_exp_f32_e32 v55, v55                                     // 000000005D50: 7E6E4137
	v_exp_f32_e32 v56, v56                                     // 000000005D54: 7E704138
	v_exp_f32_e32 v57, v57                                     // 000000005D58: 7E724139
	v_mfma_f32_32x32x64_f8f6f4 v[188:203], a[128:135], v[60:67], v[188:203]// 000000005D5C: D3AE00BC 0EF27980
	v_exp_f32_e32 v58, v58                                     // 000000005D64: 7E74413A
	v_exp_f32_e32 v59, v59                                     // 000000005D68: 7E76413B
	v_mul_f32_e32 v4, v21, v4                                  // 000000005D6C: 0A080915
	v_mov_b32_e32 v35, v44                                     // 000000005D70: 7E46032C
	v_add_f32_e32 v35, v45, v35                                // 000000005D74: 0246472D
	v_add_f32_e32 v35, v46, v35                                // 000000005D78: 0246472E
	v_add_f32_e32 v35, v47, v35                                // 000000005D7C: 0246472F
	v_add_f32_e32 v35, v48, v35                                // 000000005D80: 02464730
	ds_read_b128 a[128:131], v22 offset:7168                   // 000000005D84: DBFE1C00 80000016
	ds_read_b128 a[132:135], v23 offset:7168                   // 000000005D8C: DBFE1C00 84000017
	ds_read_b128 a[136:139], v22 offset:8192                   // 000000005D94: DBFE2000 88000016
	ds_read_b128 a[140:143], v23 offset:8192                   // 000000005D9C: DBFE2000 8C000017
	v_add_f32_e32 v35, v49, v35                                // 000000005DA4: 02464731
	v_add_f32_e32 v35, v50, v35                                // 000000005DA8: 02464732
	v_add_f32_e32 v35, v51, v35                                // 000000005DAC: 02464733
	v_add_f32_e32 v35, v52, v35                                // 000000005DB0: 02464734
	v_add_f32_e32 v35, v53, v35                                // 000000005DB4: 02464735
	v_add_f32_e32 v35, v54, v35                                // 000000005DB8: 02464736
	v_add_f32_e32 v35, v55, v35                                // 000000005DBC: 02464737
	v_add_f32_e32 v35, v56, v35                                // 000000005DC0: 02464738
	v_add_f32_e32 v35, v57, v35                                // 000000005DC4: 02464739
	v_add_f32_e32 v35, v58, v35                                // 000000005DC8: 0246473A
	v_add_f32_e32 v35, v59, v35                                // 000000005DCC: 0246473B
	v_add_f32_e32 v4, v35, v4                                  // 000000005DD0: 02080923
	v_cvt_pk_fp8_f32 v44, v44, v45                             // 000000005DD4: D2A2002C 00025B2C
	v_cvt_pk_fp8_f32 v44, v46, v47 op_sel:[0,0,1]              // 000000005DDC: D2A2402C 00025F2E
	v_cvt_pk_fp8_f32 v45, v48, v49                             // 000000005DE4: D2A2002D 00026330
	v_cvt_pk_fp8_f32 v45, v50, v51 op_sel:[0,0,1]              // 000000005DEC: D2A2402D 00026732
	v_cvt_pk_fp8_f32 v46, v52, v53                             // 000000005DF4: D2A2002E 00026B34
	v_cvt_pk_fp8_f32 v46, v54, v55 op_sel:[0,0,1]              // 000000005DFC: D2A2402E 00026F36
	v_cvt_pk_fp8_f32 v47, v56, v57                             // 000000005E04: D2A2002F 00027338
	v_cvt_pk_fp8_f32 v47, v58, v59 op_sel:[0,0,1]              // 000000005E0C: D2A2402F 0002773A
	s_waitcnt lgkmcnt(8)                                       // 000000005E14: BF8CC87F
	v_mfma_f32_32x32x64_f8f6f4 v[60:75], a[72:79], a[0:7], 0   // 000000005E18: D3AE003C 1A020148
	ds_write_b128 v43, v[44:47] offset:1024                    // 000000005E20: D9BE0400 00002C2B
	v_mul_f32_e32 v76, v21, v76                                // 000000005E28: 0A989915
	v_mul_f32_e32 v77, v21, v77                                // 000000005E2C: 0A9A9B15
	v_mul_f32_e32 v78, v21, v78                                // 000000005E30: 0A9C9D15
	v_mul_f32_e32 v79, v21, v79                                // 000000005E34: 0A9E9F15
	v_mul_f32_e32 v80, v21, v80                                // 000000005E38: 0AA0A115
	v_mul_f32_e32 v81, v21, v81                                // 000000005E3C: 0AA2A315
	v_mul_f32_e32 v82, v21, v82                                // 000000005E40: 0AA4A515
	v_mul_f32_e32 v83, v21, v83                                // 000000005E44: 0AA6A715
	v_mul_f32_e32 v84, v21, v84                                // 000000005E48: 0AA8A915
	v_mul_f32_e32 v85, v21, v85                                // 000000005E4C: 0AAAAB15
	v_mul_f32_e32 v86, v21, v86                                // 000000005E50: 0AACAD15
	v_mul_f32_e32 v87, v21, v87                                // 000000005E54: 0AAEAF15
	v_mul_f32_e32 v88, v21, v88                                // 000000005E58: 0AB0B115
	v_mul_f32_e32 v89, v21, v89                                // 000000005E5C: 0AB2B315
	v_mfma_f32_32x32x64_f8f6f4 v[60:75], a[80:87], a[8:15], v[60:75]// 000000005E60: D3AE003C 1CF21150
	buffer_load_dword v33, v34, s[24:27], 0 offen              // 000000005E68: E0501000 80062122
	buffer_load_dwordx4 v217, s[20:23], 0 offen offset:256 lds // 000000005E70: E05D1100 800500D9
	s_add_i32 m0, m0, 0x3c0                                    // 000000005E78: 817CFF7C 000003C0
	v_mul_f32_e32 v90, v21, v90                                // 000000005E80: 0AB4B515
	v_mul_f32_e32 v91, v21, v91                                // 000000005E84: 0AB6B715
	v_mul_f32_e32 v92, v21, v92                                // 000000005E88: 0AB8B915
	v_mul_f32_e32 v93, v21, v93                                // 000000005E8C: 0ABABB15
	v_mul_f32_e32 v94, v21, v94                                // 000000005E90: 0ABCBD15
	v_mul_f32_e32 v95, v21, v95                                // 000000005E94: 0ABEBF15
	v_mov_b32_e32 v36, v21                                     // 000000005E98: 7E480315
	v_mov_b32_e32 v37, v21                                     // 000000005E9C: 7E4A0315
	v_pk_mul_f32 v[140:141], v[36:37], v[140:141]              // 000000005EA0: D3B1408C 18031924
	v_pk_mul_f32 v[142:143], v[36:37], v[142:143]              // 000000005EA8: D3B1408E 18031D24
	s_waitcnt lgkmcnt(0)                                       // 000000005EB0: BF8CC07F
	s_barrier                                                  // 000000005EB4: BF8A0000
	v_mfma_f32_32x32x64_f8f6f4 v[60:75], a[88:95], a[16:23], v[60:75]// 000000005EB8: D3AE003C 1CF22158
	ds_read_b128 v[44:47], v42 offset:1024                     // 000000005EC0: D9FE0400 2C00002A
	ds_read_b128 v[48:51], v42 offset:2048                     // 000000005EC8: D9FE0800 3000002A
	ds_read_b64_tr_b8 a[72:73], v17                            // 000000005ED0: DBC40000 48000011
	ds_read_b64_tr_b8 a[74:75], v18                            // 000000005ED8: DBC40000 4A000012
	ds_read_b64_tr_b8 a[76:77], v17 offset:18432               // 000000005EE0: DBC44800 4C000011
	ds_read_b64_tr_b8 a[78:79], v18 offset:18432               // 000000005EE8: DBC44800 4E000012
	ds_read_b64_tr_b8 a[80:81], v19                            // 000000005EF0: DBC40000 50000013
	ds_read_b64_tr_b8 a[82:83], v20                            // 000000005EF8: DBC40000 52000014
	ds_read_b64_tr_b8 a[84:85], v19 offset:18432               // 000000005F00: DBC44800 54000013
	ds_read_b64_tr_b8 a[86:87], v20 offset:18432               // 000000005F08: DBC44800 56000014
	v_mul_f32_e32 v96, v21, v96                                // 000000005F10: 0AC0C115
	v_mul_f32_e32 v97, v21, v97                                // 000000005F14: 0AC2C315
	v_mul_f32_e32 v98, v21, v98                                // 000000005F18: 0AC4C515
	v_mul_f32_e32 v99, v21, v99                                // 000000005F1C: 0AC6C715
	v_mul_f32_e32 v100, v21, v100                              // 000000005F20: 0AC8C915
	v_mul_f32_e32 v101, v21, v101                              // 000000005F24: 0ACACB15
	v_mul_f32_e32 v102, v21, v102                              // 000000005F28: 0ACCCD15
	v_mul_f32_e32 v103, v21, v103                              // 000000005F2C: 0ACECF15
	v_mul_f32_e32 v104, v21, v104                              // 000000005F30: 0AD0D115
	v_mul_f32_e32 v105, v21, v105                              // 000000005F34: 0AD2D315
	v_mul_f32_e32 v106, v21, v106                              // 000000005F38: 0AD4D515
	v_mul_f32_e32 v107, v21, v107                              // 000000005F3C: 0AD6D715
	v_add_u32_e32 v34, s73, v34                                // 000000005F40: 68444449
	v_mfma_f32_32x32x64_f8f6f4 v[60:75], a[96:103], a[24:31], v[60:75]// 000000005F44: D3AE003C 1CF23160
	buffer_load_dwordx4 v217, s[20:23], 0 offen offset:320 lds // 000000005F4C: E05D1140 800500D9
	s_add_i32 m0, m0, 0x3c0                                    // 000000005F54: 817CFF7C 000003C0
	v_mul_f32_e32 v108, v21, v108                              // 000000005F5C: 0AD8D915
	v_mul_f32_e32 v109, v21, v109                              // 000000005F60: 0ADADB15
	v_mul_f32_e32 v110, v21, v110                              // 000000005F64: 0ADCDD15
	v_mul_f32_e32 v111, v21, v111                              // 000000005F68: 0ADEDF15
	v_mul_f32_e32 v112, v21, v112                              // 000000005F6C: 0AE0E115
	v_mul_f32_e32 v113, v21, v113                              // 000000005F70: 0AE2E315
	v_mul_f32_e32 v114, v21, v114                              // 000000005F74: 0AE4E515
	v_mul_f32_e32 v115, v21, v115                              // 000000005F78: 0AE6E715
	v_mul_f32_e32 v116, v21, v116                              // 000000005F7C: 0AE8E915
	v_mul_f32_e32 v117, v21, v117                              // 000000005F80: 0AEAEB15
	v_mul_f32_e32 v118, v21, v118                              // 000000005F84: 0AECED15
	v_mul_f32_e32 v119, v21, v119                              // 000000005F88: 0AEEEF15
	v_mfma_f32_32x32x64_f8f6f4 v[60:75], a[104:111], a[32:39], v[60:75]// 000000005F8C: D3AE003C 1CF24168
	ds_read_b64_tr_b8 a[88:89], v17 offset:1024                // 000000005F94: DBC40400 58000011
	ds_read_b64_tr_b8 a[90:91], v18 offset:1024                // 000000005F9C: DBC40400 5A000012
	ds_read_b64_tr_b8 a[92:93], v17 offset:19456               // 000000005FA4: DBC44C00 5C000011
	ds_read_b64_tr_b8 a[94:95], v18 offset:19456               // 000000005FAC: DBC44C00 5E000012
	ds_read_b64_tr_b8 a[96:97], v19 offset:1024                // 000000005FB4: DBC40400 60000013
	ds_read_b64_tr_b8 a[98:99], v20 offset:1024                // 000000005FBC: DBC40400 62000014
	ds_read_b64_tr_b8 a[100:101], v19 offset:19456             // 000000005FC4: DBC44C00 64000013
	ds_read_b64_tr_b8 a[102:103], v20 offset:19456             // 000000005FCC: DBC44C00 66000014
	v_mul_f32_e32 v120, v21, v120                              // 000000005FD4: 0AF0F115
	v_mul_f32_e32 v121, v21, v121                              // 000000005FD8: 0AF2F315
	v_mul_f32_e32 v122, v21, v122                              // 000000005FDC: 0AF4F515
	v_mul_f32_e32 v123, v21, v123                              // 000000005FE0: 0AF6F715
	v_mul_f32_e32 v124, v21, v124                              // 000000005FE4: 0AF8F915
	v_mul_f32_e32 v125, v21, v125                              // 000000005FE8: 0AFAFB15
	v_mul_f32_e32 v126, v21, v126                              // 000000005FEC: 0AFCFD15
	v_mul_f32_e32 v127, v21, v127                              // 000000005FF0: 0AFEFF15
	v_mul_f32_e32 v128, v21, v128                              // 000000005FF4: 0B010115
	v_mul_f32_e32 v129, v21, v129                              // 000000005FF8: 0B030315
	v_mul_f32_e32 v130, v21, v130                              // 000000005FFC: 0B050515
	v_mul_f32_e32 v131, v21, v131                              // 000000006000: 0B070715
	v_mfma_f32_32x32x64_f8f6f4 v[60:75], a[112:119], a[40:47], v[60:75]// 000000006004: D3AE003C 1CF25170
	s_waitcnt lgkmcnt(0)                                       // 00000000600C: BF8CC07F
	buffer_load_dwordx4 v217, s[20:23], 0 offen offset:384 lds // 000000006010: E05D1180 800500D9
	s_add_i32 m0, m0, 0x3c0                                    // 000000006018: 817CFF7C 000003C0
	v_mul_f32_e32 v132, v21, v132                              // 000000006020: 0B090915
	v_mul_f32_e32 v133, v21, v133                              // 000000006024: 0B0B0B15
	v_mul_f32_e32 v134, v21, v134                              // 000000006028: 0B0D0D15
	v_mul_f32_e32 v135, v21, v135                              // 00000000602C: 0B0F0F15
	v_mul_f32_e32 v136, v21, v136                              // 000000006030: 0B111115
	v_mul_f32_e32 v137, v21, v137                              // 000000006034: 0B131315
	v_mul_f32_e32 v138, v21, v138                              // 000000006038: 0B151515
	v_mul_f32_e32 v139, v21, v139                              // 00000000603C: 0B171715
	v_mfma_f32_32x32x64_f8f6f4 v[60:75], a[120:127], a[48:55], v[60:75]// 000000006040: D3AE003C 1CF26178
	ds_read_b64_tr_b8 a[104:105], v17 offset:2048              // 000000006048: DBC40800 68000011
	ds_read_b64_tr_b8 a[106:107], v18 offset:2048              // 000000006050: DBC40800 6A000012
	ds_read_b64_tr_b8 a[108:109], v17 offset:20480             // 000000006058: DBC45000 6C000011
	ds_read_b64_tr_b8 a[110:111], v18 offset:20480             // 000000006060: DBC45000 6E000012
	ds_read_b64_tr_b8 a[112:113], v19 offset:2048              // 000000006068: DBC40800 70000013
	ds_read_b64_tr_b8 a[114:115], v20 offset:2048              // 000000006070: DBC40800 72000014
	ds_read_b64_tr_b8 a[116:117], v19 offset:20480             // 000000006078: DBC45000 74000013
	ds_read_b64_tr_b8 a[118:119], v20 offset:20480             // 000000006080: DBC45000 76000014
	v_permlane32_swap_b32_e32 v44, v46                         // 000000006088: 7E58B52E
	v_permlane32_swap_b32_e32 v45, v47                         // 00000000608C: 7E5AB52F
	v_swap_b32 v45, v46                                        // 000000006090: 7E5AA32E
	v_permlane32_swap_b32_e32 v48, v50                         // 000000006094: 7E60B532
	v_permlane32_swap_b32_e32 v49, v51                         // 000000006098: 7E62B533
	v_swap_b32 v49, v50                                        // 00000000609C: 7E62A332
	v_mfma_f32_32x32x64_f8f6f4 v[60:75], a[128:135], a[56:63], v[60:75]// 0000000060A0: D3AE003C 1CF27180
	buffer_load_dwordx4 v217, s[20:23], 0 offen offset:448 lds // 0000000060A8: E05D11C0 800500D9
	s_add_i32 m0, m0, 0x3c0                                    // 0000000060B0: 817CFF7C 000003C0
	v_pk_mul_f32 v[144:145], v[36:37], v[144:145]              // 0000000060B8: D3B14090 18032124
	v_pk_mul_f32 v[146:147], v[36:37], v[146:147]              // 0000000060C0: D3B14092 18032524
	v_pk_mul_f32 v[148:149], v[36:37], v[148:149]              // 0000000060C8: D3B14094 18032924
	v_pk_mul_f32 v[150:151], v[36:37], v[150:151]              // 0000000060D0: D3B14096 18032D24
	v_pk_mul_f32 v[152:153], v[36:37], v[152:153]              // 0000000060D8: D3B14098 18033124
	v_pk_mul_f32 v[154:155], v[36:37], v[154:155]              // 0000000060E0: D3B1409A 18033524
	v_pk_mul_f32 v[156:157], v[36:37], v[156:157]              // 0000000060E8: D3B1409C 18033924
	v_pk_mul_f32 v[158:159], v[36:37], v[158:159]              // 0000000060F0: D3B1409E 18033D24
	v_pk_mul_f32 v[160:161], v[36:37], v[160:161]              // 0000000060F8: D3B140A0 18034124
	v_pk_mul_f32 v[162:163], v[36:37], v[162:163]              // 000000006100: D3B140A2 18034524
	v_pk_mul_f32 v[164:165], v[36:37], v[164:165]              // 000000006108: D3B140A4 18034924
	v_pk_mul_f32 v[166:167], v[36:37], v[166:167]              // 000000006110: D3B140A6 18034D24
	v_pk_mul_f32 v[168:169], v[36:37], v[168:169]              // 000000006118: D3B140A8 18035124
	v_pk_mul_f32 v[170:171], v[36:37], v[170:171]              // 000000006120: D3B140AA 18035524
	v_pk_mul_f32 v[172:173], v[36:37], v[172:173]              // 000000006128: D3B140AC 18035924
	v_pk_mul_f32 v[174:175], v[36:37], v[174:175]              // 000000006130: D3B140AE 18035D24
	v_pk_mul_f32 v[176:177], v[36:37], v[176:177]              // 000000006138: D3B140B0 18036124
	v_pk_mul_f32 v[178:179], v[36:37], v[178:179]              // 000000006140: D3B140B2 18036524
	v_pk_mul_f32 v[180:181], v[36:37], v[180:181]              // 000000006148: D3B140B4 18036924
	v_pk_mul_f32 v[182:183], v[36:37], v[182:183]              // 000000006150: D3B140B6 18036D24
	v_pk_mul_f32 v[184:185], v[36:37], v[184:185]              // 000000006158: D3B140B8 18037124
	v_pk_mul_f32 v[186:187], v[36:37], v[186:187]              // 000000006160: D3B140BA 18037524
	v_pk_mul_f32 v[188:189], v[36:37], v[188:189]              // 000000006168: D3B140BC 18037924
	v_pk_mul_f32 v[190:191], v[36:37], v[190:191]              // 000000006170: D3B140BE 18037D24
	v_pk_mul_f32 v[192:193], v[36:37], v[192:193]              // 000000006178: D3B140C0 18038124
	v_pk_mul_f32 v[194:195], v[36:37], v[194:195]              // 000000006180: D3B140C2 18038524
	v_pk_mul_f32 v[196:197], v[36:37], v[196:197]              // 000000006188: D3B140C4 18038924
	v_pk_mul_f32 v[198:199], v[36:37], v[198:199]              // 000000006190: D3B140C6 18038D24
	v_pk_mul_f32 v[200:201], v[36:37], v[200:201]              // 000000006198: D3B140C8 18039124
	v_pk_mul_f32 v[202:203], v[36:37], v[202:203]              // 0000000061A0: D3B140CA 18039524
	v_mfma_f32_32x32x64_f8f6f4 v[60:75], a[136:143], a[64:71], v[60:75]// 0000000061A8: D3AE003C 1CF28188
	ds_read_b64_tr_b8 a[120:121], v17 offset:3072              // 0000000061B0: DBC40C00 78000011
	ds_read_b64_tr_b8 a[122:123], v18 offset:3072              // 0000000061B8: DBC40C00 7A000012
	ds_read_b64_tr_b8 a[124:125], v17 offset:21504             // 0000000061C0: DBC45400 7C000011
	ds_read_b64_tr_b8 a[126:127], v18 offset:21504             // 0000000061C8: DBC45400 7E000012
	ds_read_b64_tr_b8 a[128:129], v19 offset:3072              // 0000000061D0: DBC40C00 80000013
	ds_read_b64_tr_b8 a[130:131], v20 offset:3072              // 0000000061D8: DBC40C00 82000014
	ds_read_b64_tr_b8 a[132:133], v19 offset:21504             // 0000000061E0: DBC45400 84000013
	ds_read_b64_tr_b8 a[134:135], v20 offset:21504             // 0000000061E8: DBC45400 86000014
	buffer_load_dwordx4 v217, s[20:23], 0 offen offset:512 lds // 0000000061F0: E05D1200 800500D9
	s_add_i32 m0, m0, 0x3c0                                    // 0000000061F8: 817CFF7C 000003C0
	s_addk_i32 s70, 0x1                                        // 000000006200: B7460001
	s_cmp_lt_i32 s70, s71                                      // 000000006204: BF044746
	s_cbranch_scc0 label_2F98                                  // 000000006208: BF84FC63
	v_mul_u32_u24_e64 v217, v32, s68                           // 00000000620C: D10800D9 00008920
	v_add_u32_e32 v217, v217, v1                               // 000000006214: 69B203D9
	s_waitcnt vmcnt(10)                                        // 000000006218: BF8C0F7A
	s_barrier                                                  // 00000000621C: BF8A0000
	s_waitcnt lgkmcnt(8)                                       // 000000006220: BF8CC87F
	v_mfma_f32_32x32x64_f8f6f4 v[76:91], a[72:79], v[44:51], v[76:91]// 000000006224: D3AE004C 0D325948
	v_mov_b32_e32 v213, v60                                    // 00000000622C: 7FAA033C
	v_max3_f32 v213, v60, v61, v213                            // 000000006230: D1D300D5 07567B3C
	v_max3_f32 v213, v62, v63, v213                            // 000000006238: D1D300D5 07567F3E
	v_max3_f32 v213, v64, v65, v213                            // 000000006240: D1D300D5 07568340
	v_max3_f32 v213, v66, v67, v213                            // 000000006248: D1D300D5 07568742
	v_max3_f32 v213, v68, v69, v213                            // 000000006250: D1D300D5 07568B44
	v_max3_f32 v213, v70, v71, v213                            // 000000006258: D1D300D5 07568F46
	v_max3_f32 v213, v72, v73, v213                            // 000000006260: D1D300D5 07569348
	v_max3_f32 v213, v74, v75, v213                            // 000000006268: D1D300D5 0756974A
	v_mov_b32_e32 v35, v213                                    // 000000006270: 7E4603D5
	v_mov_b32_e32 v36, v213                                    // 000000006274: 7E4803D5
	s_nop 0                                                    // 000000006278: BF800000
	ds_read_b128 a[72:75], v24                                 // 00000000627C: DBFE0000 48000018
	ds_read_b128 a[76:79], v25                                 // 000000006284: DBFE0000 4C000019
	v_mfma_f32_32x32x64_f8f6f4 v[92:107], a[80:87], v[44:51], v[92:107]// 00000000628C: D3AE005C 0D725950
	v_permlane32_swap_b32_e32 v35, v36                         // 000000006294: 7E46B524
	v_max3_f32 v213, v35, v36, v213                            // 000000006298: D1D300D5 07564923
	ds_write_b32 v41, v213                                     // 0000000062A0: D81A0000 0000D529
	s_mov_b32 s56, 0x1d000                                     // 0000000062A8: BEB800FF 0001D000
	s_mul_i32 s57, s7, 0x2400                                  // 0000000062B0: 9239FF07 00002400
	s_add_u32 m0, s56, s57                                     // 0000000062B8: 807C3938
	buffer_load_dwordx4 v217, s[20:23], 0 offen lds            // 0000000062BC: E05D1000 800500D9
	s_add_i32 m0, m0, 0x3c0                                    // 0000000062C4: 817CFF7C 000003C0
	buffer_load_dwordx4 v217, s[20:23], 0 offen offset:64 lds  // 0000000062CC: E05D1040 800500D9
	s_add_i32 m0, m0, 0x3c0                                    // 0000000062D4: 817CFF7C 000003C0
	s_waitcnt lgkmcnt(0)                                       // 0000000062DC: BF8CC07F
	s_barrier                                                  // 0000000062E0: BF8A0000
	v_mfma_f32_32x32x64_f8f6f4 v[108:123], a[88:95], v[44:51], v[108:123]// 0000000062E4: D3AE006C 0DB25958
	ds_read_b32 v35, v40                                       // 0000000062EC: D86C0000 23000028
	ds_read_b32 v36, v40 offset:256                            // 0000000062F4: D86C0100 24000028
	s_waitcnt lgkmcnt(0)                                       // 0000000062FC: BF8CC07F
	v_max3_f32 v213, v35, v36, v213                            // 000000006300: D1D300D5 07564923
	v_mov_b32_e32 v35, 0xff800000                              // 000000006308: 7E4602FF FF800000
	v_cmp_eq_u32_e64 s[36:37], v35, v2                         // 000000006310: D0CA0024 00020523
	v_max_f32_e32 v216, v213, v2                               // 000000006318: 17B005D5
	v_sub_f32_e32 v21, v2, v216                                // 00000000631C: 042BB102
	v_cndmask_b32_e64 v21, v21, 0, s[36:37]                    // 000000006320: D1000015 00910115
	v_mfma_f32_32x32x64_f8f6f4 v[124:139], a[96:103], v[44:51], v[124:139]// 000000006328: D3AE007C 0DF25960
	ds_read_b128 a[80:83], v24 offset:1024                     // 000000006330: DBFE0400 50000018
	ds_read_b128 a[84:87], v25 offset:1024                     // 000000006338: DBFE0400 54000019
	ds_read_b128 a[88:91], v24 offset:2048                     // 000000006340: DBFE0800 58000018
	ds_read_b128 a[92:95], v25 offset:2048                     // 000000006348: DBFE0800 5C000019
	ds_read_b128 a[96:99], v24 offset:3072                     // 000000006350: DBFE0C00 60000018
	ds_read_b128 a[100:103], v25 offset:3072                   // 000000006358: DBFE0C00 64000019
	v_mov_b32_e32 v2, v216                                     // 000000006360: 7E0403D8
	v_mul_f32_e32 v212, s5, v216                               // 000000006364: 0BA9B005
	v_mul_f32_e32 v21, s5, v21                                 // 000000006368: 0A2A2A05
	v_exp_f32_e32 v21, v21                                     // 00000000636C: 7E2A4115
	v_fma_f32 v60, v60, s5, -v212                              // 000000006370: D1CB003C 87500B3C
	v_fma_f32 v61, v61, s5, -v212                              // 000000006378: D1CB003D 87500B3D
	v_fma_f32 v62, v62, s5, -v212                              // 000000006380: D1CB003E 87500B3E
	v_fma_f32 v63, v63, s5, -v212                              // 000000006388: D1CB003F 87500B3F
	v_fma_f32 v64, v64, s5, -v212                              // 000000006390: D1CB0040 87500B40
	v_mfma_f32_32x32x64_f8f6f4 v[140:155], a[104:111], v[44:51], v[140:155]// 000000006398: D3AE008C 0E325968
	buffer_load_dwordx4 v217, s[20:23], 0 offen offset:128 lds // 0000000063A0: E05D1080 800500D9
	s_add_i32 m0, m0, 0x3c0                                    // 0000000063A8: 817CFF7C 000003C0
	v_fma_f32 v65, v65, s5, -v212                              // 0000000063B0: D1CB0041 87500B41
	v_fma_f32 v66, v66, s5, -v212                              // 0000000063B8: D1CB0042 87500B42
	v_fma_f32 v67, v67, s5, -v212                              // 0000000063C0: D1CB0043 87500B43
	v_fma_f32 v68, v68, s5, -v212                              // 0000000063C8: D1CB0044 87500B44
	v_fma_f32 v69, v69, s5, -v212                              // 0000000063D0: D1CB0045 87500B45
	v_fma_f32 v70, v70, s5, -v212                              // 0000000063D8: D1CB0046 87500B46
	v_fma_f32 v71, v71, s5, -v212                              // 0000000063E0: D1CB0047 87500B47
	v_fma_f32 v72, v72, s5, -v212                              // 0000000063E8: D1CB0048 87500B48
	v_fma_f32 v73, v73, s5, -v212                              // 0000000063F0: D1CB0049 87500B49
	v_fma_f32 v74, v74, s5, -v212                              // 0000000063F8: D1CB004A 87500B4A
	v_fma_f32 v75, v75, s5, -v212                              // 000000006400: D1CB004B 87500B4B
	v_exp_f32_e32 v60, v60                                     // 000000006408: 7E78413C
	v_exp_f32_e32 v61, v61                                     // 00000000640C: 7E7A413D
	v_mfma_f32_32x32x64_f8f6f4 v[156:171], a[112:119], v[44:51], v[156:171]// 000000006410: D3AE009C 0E725970
	ds_read_b128 a[104:107], v24 offset:4096                   // 000000006418: DBFE1000 68000018
	ds_read_b128 a[108:111], v25 offset:4096                   // 000000006420: DBFE1000 6C000019
	ds_read_b128 a[112:115], v24 offset:5120                   // 000000006428: DBFE1400 70000018
	ds_read_b128 a[116:119], v25 offset:5120                   // 000000006430: DBFE1400 74000019
	ds_read_b128 a[120:123], v24 offset:6144                   // 000000006438: DBFE1800 78000018
	ds_read_b128 a[124:127], v25 offset:6144                   // 000000006440: DBFE1800 7C000019
	v_exp_f32_e32 v62, v62                                     // 000000006448: 7E7C413E
	v_exp_f32_e32 v63, v63                                     // 00000000644C: 7E7E413F
	v_exp_f32_e32 v64, v64                                     // 000000006450: 7E804140
	v_exp_f32_e32 v65, v65                                     // 000000006454: 7E824141
	v_exp_f32_e32 v66, v66                                     // 000000006458: 7E844142
	v_mfma_f32_32x32x64_f8f6f4 v[172:187], a[120:127], v[44:51], v[172:187]// 00000000645C: D3AE00AC 0EB25978
	buffer_load_dwordx4 v217, s[20:23], 0 offen offset:192 lds // 000000006464: E05D10C0 800500D9
	s_add_i32 m0, m0, 0x3c0                                    // 00000000646C: 817CFF7C 000003C0
	v_exp_f32_e32 v67, v67                                     // 000000006474: 7E864143
	v_exp_f32_e32 v68, v68                                     // 000000006478: 7E884144
	v_exp_f32_e32 v69, v69                                     // 00000000647C: 7E8A4145
	v_exp_f32_e32 v70, v70                                     // 000000006480: 7E8C4146
	v_exp_f32_e32 v71, v71                                     // 000000006484: 7E8E4147
	v_exp_f32_e32 v72, v72                                     // 000000006488: 7E904148
	v_exp_f32_e32 v73, v73                                     // 00000000648C: 7E924149
	v_mfma_f32_32x32x64_f8f6f4 v[188:203], a[128:135], v[44:51], v[188:203]// 000000006490: D3AE00BC 0EF25980
	v_exp_f32_e32 v74, v74                                     // 000000006498: 7E94414A
	v_exp_f32_e32 v75, v75                                     // 00000000649C: 7E96414B
	v_mul_f32_e32 v4, v21, v4                                  // 0000000064A0: 0A080915
	v_mov_b32_e32 v35, v60                                     // 0000000064A4: 7E46033C
	v_add_f32_e32 v35, v61, v35                                // 0000000064A8: 0246473D
	v_add_f32_e32 v35, v62, v35                                // 0000000064AC: 0246473E
	v_add_f32_e32 v35, v63, v35                                // 0000000064B0: 0246473F
	v_add_f32_e32 v35, v64, v35                                // 0000000064B4: 02464740
	ds_read_b128 a[128:131], v24 offset:7168                   // 0000000064B8: DBFE1C00 80000018
	ds_read_b128 a[132:135], v25 offset:7168                   // 0000000064C0: DBFE1C00 84000019
	ds_read_b128 a[136:139], v24 offset:8192                   // 0000000064C8: DBFE2000 88000018
	ds_read_b128 a[140:143], v25 offset:8192                   // 0000000064D0: DBFE2000 8C000019
	v_add_f32_e32 v35, v65, v35                                // 0000000064D8: 02464741
	v_add_f32_e32 v35, v66, v35                                // 0000000064DC: 02464742
	v_add_f32_e32 v35, v67, v35                                // 0000000064E0: 02464743
	v_add_f32_e32 v35, v68, v35                                // 0000000064E4: 02464744
	v_add_f32_e32 v35, v69, v35                                // 0000000064E8: 02464745
	v_add_f32_e32 v35, v70, v35                                // 0000000064EC: 02464746
	v_add_f32_e32 v35, v71, v35                                // 0000000064F0: 02464747
	v_add_f32_e32 v35, v72, v35                                // 0000000064F4: 02464748
	v_add_f32_e32 v35, v73, v35                                // 0000000064F8: 02464749
	v_add_f32_e32 v35, v74, v35                                // 0000000064FC: 0246474A
	v_add_f32_e32 v35, v75, v35                                // 000000006500: 0246474B
	v_add_f32_e32 v4, v35, v4                                  // 000000006504: 02080923
	v_cvt_pk_fp8_f32 v60, v60, v61                             // 000000006508: D2A2003C 00027B3C
	v_cvt_pk_fp8_f32 v60, v62, v63 op_sel:[0,0,1]              // 000000006510: D2A2403C 00027F3E
	v_cvt_pk_fp8_f32 v61, v64, v65                             // 000000006518: D2A2003D 00028340
	v_cvt_pk_fp8_f32 v61, v66, v67 op_sel:[0,0,1]              // 000000006520: D2A2403D 00028742
	v_cvt_pk_fp8_f32 v62, v68, v69                             // 000000006528: D2A2003E 00028B44
	v_cvt_pk_fp8_f32 v62, v70, v71 op_sel:[0,0,1]              // 000000006530: D2A2403E 00028F46
	v_cvt_pk_fp8_f32 v63, v72, v73                             // 000000006538: D2A2003F 00029348
	v_cvt_pk_fp8_f32 v63, v74, v75 op_sel:[0,0,1]              // 000000006540: D2A2403F 0002974A
	s_waitcnt lgkmcnt(8)                                       // 000000006548: BF8CC87F
	v_mfma_f32_32x32x64_f8f6f4 v[44:59], a[72:79], a[0:7], 0   // 00000000654C: D3AE002C 1A020148
	ds_write_b128 v43, v[60:63] offset:1024                    // 000000006554: D9BE0400 00003C2B
	v_mul_f32_e32 v76, v21, v76                                // 00000000655C: 0A989915
	v_mul_f32_e32 v77, v21, v77                                // 000000006560: 0A9A9B15
	v_mul_f32_e32 v78, v21, v78                                // 000000006564: 0A9C9D15
	v_mul_f32_e32 v79, v21, v79                                // 000000006568: 0A9E9F15
	v_mul_f32_e32 v80, v21, v80                                // 00000000656C: 0AA0A115
	v_mul_f32_e32 v81, v21, v81                                // 000000006570: 0AA2A315
	v_mul_f32_e32 v82, v21, v82                                // 000000006574: 0AA4A515
	v_mul_f32_e32 v83, v21, v83                                // 000000006578: 0AA6A715
	v_mul_f32_e32 v84, v21, v84                                // 00000000657C: 0AA8A915
	v_mul_f32_e32 v85, v21, v85                                // 000000006580: 0AAAAB15
	v_mul_f32_e32 v86, v21, v86                                // 000000006584: 0AACAD15
	v_mul_f32_e32 v87, v21, v87                                // 000000006588: 0AAEAF15
	v_mul_f32_e32 v88, v21, v88                                // 00000000658C: 0AB0B115
	v_mul_f32_e32 v89, v21, v89                                // 000000006590: 0AB2B315
	v_mfma_f32_32x32x64_f8f6f4 v[44:59], a[80:87], a[8:15], v[44:59]// 000000006594: D3AE002C 1CB21150
	buffer_load_dword v30, v34, s[24:27], 0 offen              // 00000000659C: E0501000 80061E22
	buffer_load_dwordx4 v217, s[20:23], 0 offen offset:256 lds // 0000000065A4: E05D1100 800500D9
	s_add_i32 m0, m0, 0x3c0                                    // 0000000065AC: 817CFF7C 000003C0
	v_mul_f32_e32 v90, v21, v90                                // 0000000065B4: 0AB4B515
	v_mul_f32_e32 v91, v21, v91                                // 0000000065B8: 0AB6B715
	v_mul_f32_e32 v92, v21, v92                                // 0000000065BC: 0AB8B915
	v_mul_f32_e32 v93, v21, v93                                // 0000000065C0: 0ABABB15
	v_mul_f32_e32 v94, v21, v94                                // 0000000065C4: 0ABCBD15
	v_mul_f32_e32 v95, v21, v95                                // 0000000065C8: 0ABEBF15
	v_mov_b32_e32 v36, v21                                     // 0000000065CC: 7E480315
	v_mov_b32_e32 v37, v21                                     // 0000000065D0: 7E4A0315
	v_pk_mul_f32 v[140:141], v[36:37], v[140:141]              // 0000000065D4: D3B1408C 18031924
	v_pk_mul_f32 v[142:143], v[36:37], v[142:143]              // 0000000065DC: D3B1408E 18031D24
	s_waitcnt lgkmcnt(0)                                       // 0000000065E4: BF8CC07F
	s_barrier                                                  // 0000000065E8: BF8A0000
	v_mfma_f32_32x32x64_f8f6f4 v[44:59], a[88:95], a[16:23], v[44:59]// 0000000065EC: D3AE002C 1CB22158
	ds_read_b128 v[60:63], v42 offset:1024                     // 0000000065F4: D9FE0400 3C00002A
	ds_read_b128 v[64:67], v42 offset:2048                     // 0000000065FC: D9FE0800 4000002A
	ds_read_b64_tr_b8 a[72:73], v5                             // 000000006604: DBC40000 48000005
	ds_read_b64_tr_b8 a[74:75], v6                             // 00000000660C: DBC40000 4A000006
	ds_read_b64_tr_b8 a[76:77], v5 offset:18432                // 000000006614: DBC44800 4C000005
	ds_read_b64_tr_b8 a[78:79], v6 offset:18432                // 00000000661C: DBC44800 4E000006
	ds_read_b64_tr_b8 a[80:81], v7                             // 000000006624: DBC40000 50000007
	ds_read_b64_tr_b8 a[82:83], v8                             // 00000000662C: DBC40000 52000008
	ds_read_b64_tr_b8 a[84:85], v7 offset:18432                // 000000006634: DBC44800 54000007
	ds_read_b64_tr_b8 a[86:87], v8 offset:18432                // 00000000663C: DBC44800 56000008
	v_mul_f32_e32 v96, v21, v96                                // 000000006644: 0AC0C115
	v_mul_f32_e32 v97, v21, v97                                // 000000006648: 0AC2C315
	v_mul_f32_e32 v98, v21, v98                                // 00000000664C: 0AC4C515
	v_mul_f32_e32 v99, v21, v99                                // 000000006650: 0AC6C715
	v_mul_f32_e32 v100, v21, v100                              // 000000006654: 0AC8C915
	v_mul_f32_e32 v101, v21, v101                              // 000000006658: 0ACACB15
	v_mul_f32_e32 v102, v21, v102                              // 00000000665C: 0ACCCD15
	v_mul_f32_e32 v103, v21, v103                              // 000000006660: 0ACECF15
	v_mul_f32_e32 v104, v21, v104                              // 000000006664: 0AD0D115
	v_mul_f32_e32 v105, v21, v105                              // 000000006668: 0AD2D315
	v_mul_f32_e32 v106, v21, v106                              // 00000000666C: 0AD4D515
	v_mul_f32_e32 v107, v21, v107                              // 000000006670: 0AD6D715
	v_add_u32_e32 v34, s73, v34                                // 000000006674: 68444449
	v_mfma_f32_32x32x64_f8f6f4 v[44:59], a[96:103], a[24:31], v[44:59]// 000000006678: D3AE002C 1CB23160
	buffer_load_dwordx4 v217, s[20:23], 0 offen offset:320 lds // 000000006680: E05D1140 800500D9
	s_add_i32 m0, m0, 0x3c0                                    // 000000006688: 817CFF7C 000003C0
	v_mul_f32_e32 v108, v21, v108                              // 000000006690: 0AD8D915
	v_mul_f32_e32 v109, v21, v109                              // 000000006694: 0ADADB15
	v_mul_f32_e32 v110, v21, v110                              // 000000006698: 0ADCDD15
	v_mul_f32_e32 v111, v21, v111                              // 00000000669C: 0ADEDF15
	v_mul_f32_e32 v112, v21, v112                              // 0000000066A0: 0AE0E115
	v_mul_f32_e32 v113, v21, v113                              // 0000000066A4: 0AE2E315
	v_mul_f32_e32 v114, v21, v114                              // 0000000066A8: 0AE4E515
	v_mul_f32_e32 v115, v21, v115                              // 0000000066AC: 0AE6E715
	v_mul_f32_e32 v116, v21, v116                              // 0000000066B0: 0AE8E915
	v_mul_f32_e32 v117, v21, v117                              // 0000000066B4: 0AEAEB15
	v_mul_f32_e32 v118, v21, v118                              // 0000000066B8: 0AECED15
	v_mul_f32_e32 v119, v21, v119                              // 0000000066BC: 0AEEEF15
	v_mfma_f32_32x32x64_f8f6f4 v[44:59], a[104:111], a[32:39], v[44:59]// 0000000066C0: D3AE002C 1CB24168
	ds_read_b64_tr_b8 a[88:89], v5 offset:1024                 // 0000000066C8: DBC40400 58000005
	ds_read_b64_tr_b8 a[90:91], v6 offset:1024                 // 0000000066D0: DBC40400 5A000006
	ds_read_b64_tr_b8 a[92:93], v5 offset:19456                // 0000000066D8: DBC44C00 5C000005
	ds_read_b64_tr_b8 a[94:95], v6 offset:19456                // 0000000066E0: DBC44C00 5E000006
	ds_read_b64_tr_b8 a[96:97], v7 offset:1024                 // 0000000066E8: DBC40400 60000007
	ds_read_b64_tr_b8 a[98:99], v8 offset:1024                 // 0000000066F0: DBC40400 62000008
	ds_read_b64_tr_b8 a[100:101], v7 offset:19456              // 0000000066F8: DBC44C00 64000007
	ds_read_b64_tr_b8 a[102:103], v8 offset:19456              // 000000006700: DBC44C00 66000008
	v_mul_f32_e32 v120, v21, v120                              // 000000006708: 0AF0F115
	v_mul_f32_e32 v121, v21, v121                              // 00000000670C: 0AF2F315
	v_mul_f32_e32 v122, v21, v122                              // 000000006710: 0AF4F515
	v_mul_f32_e32 v123, v21, v123                              // 000000006714: 0AF6F715
	v_mul_f32_e32 v124, v21, v124                              // 000000006718: 0AF8F915
	v_mul_f32_e32 v125, v21, v125                              // 00000000671C: 0AFAFB15
	v_mul_f32_e32 v126, v21, v126                              // 000000006720: 0AFCFD15
	v_mul_f32_e32 v127, v21, v127                              // 000000006724: 0AFEFF15
	v_mul_f32_e32 v128, v21, v128                              // 000000006728: 0B010115
	v_mul_f32_e32 v129, v21, v129                              // 00000000672C: 0B030315
	v_mul_f32_e32 v130, v21, v130                              // 000000006730: 0B050515
	v_mul_f32_e32 v131, v21, v131                              // 000000006734: 0B070715
	v_mfma_f32_32x32x64_f8f6f4 v[44:59], a[112:119], a[40:47], v[44:59]// 000000006738: D3AE002C 1CB25170
	s_waitcnt lgkmcnt(0)                                       // 000000006740: BF8CC07F
	buffer_load_dwordx4 v217, s[20:23], 0 offen offset:384 lds // 000000006744: E05D1180 800500D9
	s_add_i32 m0, m0, 0x3c0                                    // 00000000674C: 817CFF7C 000003C0
	v_mul_f32_e32 v132, v21, v132                              // 000000006754: 0B090915
	v_mul_f32_e32 v133, v21, v133                              // 000000006758: 0B0B0B15
	v_mul_f32_e32 v134, v21, v134                              // 00000000675C: 0B0D0D15
	v_mul_f32_e32 v135, v21, v135                              // 000000006760: 0B0F0F15
	v_mul_f32_e32 v136, v21, v136                              // 000000006764: 0B111115
	v_mul_f32_e32 v137, v21, v137                              // 000000006768: 0B131315
	v_mul_f32_e32 v138, v21, v138                              // 00000000676C: 0B151515
	v_mul_f32_e32 v139, v21, v139                              // 000000006770: 0B171715
	v_mfma_f32_32x32x64_f8f6f4 v[44:59], a[120:127], a[48:55], v[44:59]// 000000006774: D3AE002C 1CB26178
	ds_read_b64_tr_b8 a[104:105], v5 offset:2048               // 00000000677C: DBC40800 68000005
	ds_read_b64_tr_b8 a[106:107], v6 offset:2048               // 000000006784: DBC40800 6A000006
	ds_read_b64_tr_b8 a[108:109], v5 offset:20480              // 00000000678C: DBC45000 6C000005
	ds_read_b64_tr_b8 a[110:111], v6 offset:20480              // 000000006794: DBC45000 6E000006
	ds_read_b64_tr_b8 a[112:113], v7 offset:2048               // 00000000679C: DBC40800 70000007
	ds_read_b64_tr_b8 a[114:115], v8 offset:2048               // 0000000067A4: DBC40800 72000008
	ds_read_b64_tr_b8 a[116:117], v7 offset:20480              // 0000000067AC: DBC45000 74000007
	ds_read_b64_tr_b8 a[118:119], v8 offset:20480              // 0000000067B4: DBC45000 76000008
	v_permlane32_swap_b32_e32 v60, v62                         // 0000000067BC: 7E78B53E
	v_permlane32_swap_b32_e32 v61, v63                         // 0000000067C0: 7E7AB53F
	v_swap_b32 v61, v62                                        // 0000000067C4: 7E7AA33E
	v_permlane32_swap_b32_e32 v64, v66                         // 0000000067C8: 7E80B542
	v_permlane32_swap_b32_e32 v65, v67                         // 0000000067CC: 7E82B543
	v_swap_b32 v65, v66                                        // 0000000067D0: 7E82A342
	v_mfma_f32_32x32x64_f8f6f4 v[44:59], a[128:135], a[56:63], v[44:59]// 0000000067D4: D3AE002C 1CB27180
	buffer_load_dwordx4 v217, s[20:23], 0 offen offset:448 lds // 0000000067DC: E05D11C0 800500D9
	s_add_i32 m0, m0, 0x3c0                                    // 0000000067E4: 817CFF7C 000003C0
	v_pk_mul_f32 v[144:145], v[36:37], v[144:145]              // 0000000067EC: D3B14090 18032124
	v_pk_mul_f32 v[146:147], v[36:37], v[146:147]              // 0000000067F4: D3B14092 18032524
	v_pk_mul_f32 v[148:149], v[36:37], v[148:149]              // 0000000067FC: D3B14094 18032924
	v_pk_mul_f32 v[150:151], v[36:37], v[150:151]              // 000000006804: D3B14096 18032D24
	v_pk_mul_f32 v[152:153], v[36:37], v[152:153]              // 00000000680C: D3B14098 18033124
	v_pk_mul_f32 v[154:155], v[36:37], v[154:155]              // 000000006814: D3B1409A 18033524
	v_pk_mul_f32 v[156:157], v[36:37], v[156:157]              // 00000000681C: D3B1409C 18033924
	v_pk_mul_f32 v[158:159], v[36:37], v[158:159]              // 000000006824: D3B1409E 18033D24
	v_pk_mul_f32 v[160:161], v[36:37], v[160:161]              // 00000000682C: D3B140A0 18034124
	v_pk_mul_f32 v[162:163], v[36:37], v[162:163]              // 000000006834: D3B140A2 18034524
	v_pk_mul_f32 v[164:165], v[36:37], v[164:165]              // 00000000683C: D3B140A4 18034924
	v_pk_mul_f32 v[166:167], v[36:37], v[166:167]              // 000000006844: D3B140A6 18034D24
	v_pk_mul_f32 v[168:169], v[36:37], v[168:169]              // 00000000684C: D3B140A8 18035124
	v_pk_mul_f32 v[170:171], v[36:37], v[170:171]              // 000000006854: D3B140AA 18035524
	v_pk_mul_f32 v[172:173], v[36:37], v[172:173]              // 00000000685C: D3B140AC 18035924
	v_pk_mul_f32 v[174:175], v[36:37], v[174:175]              // 000000006864: D3B140AE 18035D24
	v_pk_mul_f32 v[176:177], v[36:37], v[176:177]              // 00000000686C: D3B140B0 18036124
	v_pk_mul_f32 v[178:179], v[36:37], v[178:179]              // 000000006874: D3B140B2 18036524
	v_pk_mul_f32 v[180:181], v[36:37], v[180:181]              // 00000000687C: D3B140B4 18036924
	v_pk_mul_f32 v[182:183], v[36:37], v[182:183]              // 000000006884: D3B140B6 18036D24
	v_pk_mul_f32 v[184:185], v[36:37], v[184:185]              // 00000000688C: D3B140B8 18037124
	v_pk_mul_f32 v[186:187], v[36:37], v[186:187]              // 000000006894: D3B140BA 18037524
	v_pk_mul_f32 v[188:189], v[36:37], v[188:189]              // 00000000689C: D3B140BC 18037924
	v_pk_mul_f32 v[190:191], v[36:37], v[190:191]              // 0000000068A4: D3B140BE 18037D24
	v_pk_mul_f32 v[192:193], v[36:37], v[192:193]              // 0000000068AC: D3B140C0 18038124
	v_pk_mul_f32 v[194:195], v[36:37], v[194:195]              // 0000000068B4: D3B140C2 18038524
	v_pk_mul_f32 v[196:197], v[36:37], v[196:197]              // 0000000068BC: D3B140C4 18038924
	v_pk_mul_f32 v[198:199], v[36:37], v[198:199]              // 0000000068C4: D3B140C6 18038D24
	v_pk_mul_f32 v[200:201], v[36:37], v[200:201]              // 0000000068CC: D3B140C8 18039124
	v_pk_mul_f32 v[202:203], v[36:37], v[202:203]              // 0000000068D4: D3B140CA 18039524
	v_mfma_f32_32x32x64_f8f6f4 v[44:59], a[136:143], a[64:71], v[44:59]// 0000000068DC: D3AE002C 1CB28188
	ds_read_b64_tr_b8 a[120:121], v5 offset:3072               // 0000000068E4: DBC40C00 78000005
	ds_read_b64_tr_b8 a[122:123], v6 offset:3072               // 0000000068EC: DBC40C00 7A000006
	ds_read_b64_tr_b8 a[124:125], v5 offset:21504              // 0000000068F4: DBC45400 7C000005
	ds_read_b64_tr_b8 a[126:127], v6 offset:21504              // 0000000068FC: DBC45400 7E000006
	ds_read_b64_tr_b8 a[128:129], v7 offset:3072               // 000000006904: DBC40C00 80000007
	ds_read_b64_tr_b8 a[130:131], v8 offset:3072               // 00000000690C: DBC40C00 82000008
	ds_read_b64_tr_b8 a[132:133], v7 offset:21504              // 000000006914: DBC45400 84000007
	ds_read_b64_tr_b8 a[134:135], v8 offset:21504              // 00000000691C: DBC45400 86000008
	buffer_load_dwordx4 v217, s[20:23], 0 offen offset:512 lds // 000000006924: E05D1200 800500D9
	s_add_i32 m0, m0, 0x3c0                                    // 00000000692C: 817CFF7C 000003C0
	s_addk_i32 s70, 0x1                                        // 000000006934: B7460001
	s_cmp_lt_i32 s70, s71                                      // 000000006938: BF044746
	s_cbranch_scc0 label_2F98                                  // 00000000693C: BF84FA96
	v_mul_u32_u24_e64 v217, v33, s68                           // 000000006940: D10800D9 00008921
	v_add_u32_e32 v217, v217, v1                               // 000000006948: 69B203D9
	s_waitcnt vmcnt(10)                                        // 00000000694C: BF8C0F7A
	s_barrier                                                  // 000000006950: BF8A0000
	s_waitcnt lgkmcnt(8)                                       // 000000006954: BF8CC87F
	v_mfma_f32_32x32x64_f8f6f4 v[76:91], a[72:79], v[60:67], v[76:91]// 000000006958: D3AE004C 0D327948
	v_mov_b32_e32 v213, v44                                    // 000000006960: 7FAA032C
	v_max3_f32 v213, v44, v45, v213                            // 000000006964: D1D300D5 07565B2C
	v_max3_f32 v213, v46, v47, v213                            // 00000000696C: D1D300D5 07565F2E
	v_max3_f32 v213, v48, v49, v213                            // 000000006974: D1D300D5 07566330
	v_max3_f32 v213, v50, v51, v213                            // 00000000697C: D1D300D5 07566732
	v_max3_f32 v213, v52, v53, v213                            // 000000006984: D1D300D5 07566B34
	v_max3_f32 v213, v54, v55, v213                            // 00000000698C: D1D300D5 07566F36
	v_max3_f32 v213, v56, v57, v213                            // 000000006994: D1D300D5 07567338
	v_max3_f32 v213, v58, v59, v213                            // 00000000699C: D1D300D5 0756773A
	v_mov_b32_e32 v35, v213                                    // 0000000069A4: 7E4603D5
	v_mov_b32_e32 v36, v213                                    // 0000000069A8: 7E4803D5
	s_nop 0                                                    // 0000000069AC: BF800000
	ds_read_b128 a[72:75], v26                                 // 0000000069B0: DBFE0000 4800001A
	ds_read_b128 a[76:79], v27                                 // 0000000069B8: DBFE0000 4C00001B
	v_mfma_f32_32x32x64_f8f6f4 v[92:107], a[80:87], v[60:67], v[92:107]// 0000000069C0: D3AE005C 0D727950
	v_permlane32_swap_b32_e32 v35, v36                         // 0000000069C8: 7E46B524
	v_max3_f32 v213, v35, v36, v213                            // 0000000069CC: D1D300D5 07564923
	ds_write_b32 v41, v213                                     // 0000000069D4: D81A0000 0000D529
	s_mov_b32 s56, 0x2000                                      // 0000000069DC: BEB800FF 00002000
	s_mul_i32 s57, s7, 0x2400                                  // 0000000069E4: 9239FF07 00002400
	s_add_u32 m0, s56, s57                                     // 0000000069EC: 807C3938
	buffer_load_dwordx4 v217, s[20:23], 0 offen lds            // 0000000069F0: E05D1000 800500D9
	s_add_i32 m0, m0, 0x3c0                                    // 0000000069F8: 817CFF7C 000003C0
	buffer_load_dwordx4 v217, s[20:23], 0 offen offset:64 lds  // 000000006A00: E05D1040 800500D9
	s_add_i32 m0, m0, 0x3c0                                    // 000000006A08: 817CFF7C 000003C0
	s_waitcnt lgkmcnt(0)                                       // 000000006A10: BF8CC07F
	s_barrier                                                  // 000000006A14: BF8A0000
	v_mfma_f32_32x32x64_f8f6f4 v[108:123], a[88:95], v[60:67], v[108:123]// 000000006A18: D3AE006C 0DB27958
	ds_read_b32 v35, v40                                       // 000000006A20: D86C0000 23000028
	ds_read_b32 v36, v40 offset:256                            // 000000006A28: D86C0100 24000028
	s_waitcnt lgkmcnt(0)                                       // 000000006A30: BF8CC07F
	v_max3_f32 v213, v35, v36, v213                            // 000000006A34: D1D300D5 07564923
	v_mov_b32_e32 v35, 0xff800000                              // 000000006A3C: 7E4602FF FF800000
	v_cmp_eq_u32_e64 s[36:37], v35, v2                         // 000000006A44: D0CA0024 00020523
	v_max_f32_e32 v216, v213, v2                               // 000000006A4C: 17B005D5
	v_sub_f32_e32 v21, v2, v216                                // 000000006A50: 042BB102
	v_cndmask_b32_e64 v21, v21, 0, s[36:37]                    // 000000006A54: D1000015 00910115
	v_mfma_f32_32x32x64_f8f6f4 v[124:139], a[96:103], v[60:67], v[124:139]// 000000006A5C: D3AE007C 0DF27960
	ds_read_b128 a[80:83], v26 offset:1024                     // 000000006A64: DBFE0400 5000001A
	ds_read_b128 a[84:87], v27 offset:1024                     // 000000006A6C: DBFE0400 5400001B
	ds_read_b128 a[88:91], v26 offset:2048                     // 000000006A74: DBFE0800 5800001A
	ds_read_b128 a[92:95], v27 offset:2048                     // 000000006A7C: DBFE0800 5C00001B
	ds_read_b128 a[96:99], v26 offset:3072                     // 000000006A84: DBFE0C00 6000001A
	ds_read_b128 a[100:103], v27 offset:3072                   // 000000006A8C: DBFE0C00 6400001B
	v_mov_b32_e32 v2, v216                                     // 000000006A94: 7E0403D8
	v_mul_f32_e32 v212, s5, v216                               // 000000006A98: 0BA9B005
	v_mul_f32_e32 v21, s5, v21                                 // 000000006A9C: 0A2A2A05
	v_exp_f32_e32 v21, v21                                     // 000000006AA0: 7E2A4115
	v_fma_f32 v44, v44, s5, -v212                              // 000000006AA4: D1CB002C 87500B2C
	v_fma_f32 v45, v45, s5, -v212                              // 000000006AAC: D1CB002D 87500B2D
	v_fma_f32 v46, v46, s5, -v212                              // 000000006AB4: D1CB002E 87500B2E
	v_fma_f32 v47, v47, s5, -v212                              // 000000006ABC: D1CB002F 87500B2F
	v_fma_f32 v48, v48, s5, -v212                              // 000000006AC4: D1CB0030 87500B30
	v_mfma_f32_32x32x64_f8f6f4 v[140:155], a[104:111], v[60:67], v[140:155]// 000000006ACC: D3AE008C 0E327968
	buffer_load_dwordx4 v217, s[20:23], 0 offen offset:128 lds // 000000006AD4: E05D1080 800500D9
	s_add_i32 m0, m0, 0x3c0                                    // 000000006ADC: 817CFF7C 000003C0
	v_fma_f32 v49, v49, s5, -v212                              // 000000006AE4: D1CB0031 87500B31
	v_fma_f32 v50, v50, s5, -v212                              // 000000006AEC: D1CB0032 87500B32
	v_fma_f32 v51, v51, s5, -v212                              // 000000006AF4: D1CB0033 87500B33
	v_fma_f32 v52, v52, s5, -v212                              // 000000006AFC: D1CB0034 87500B34
	v_fma_f32 v53, v53, s5, -v212                              // 000000006B04: D1CB0035 87500B35
	v_fma_f32 v54, v54, s5, -v212                              // 000000006B0C: D1CB0036 87500B36
	v_fma_f32 v55, v55, s5, -v212                              // 000000006B14: D1CB0037 87500B37
	v_fma_f32 v56, v56, s5, -v212                              // 000000006B1C: D1CB0038 87500B38
	v_fma_f32 v57, v57, s5, -v212                              // 000000006B24: D1CB0039 87500B39
	v_fma_f32 v58, v58, s5, -v212                              // 000000006B2C: D1CB003A 87500B3A
	v_fma_f32 v59, v59, s5, -v212                              // 000000006B34: D1CB003B 87500B3B
	v_exp_f32_e32 v44, v44                                     // 000000006B3C: 7E58412C
	v_exp_f32_e32 v45, v45                                     // 000000006B40: 7E5A412D
	v_mfma_f32_32x32x64_f8f6f4 v[156:171], a[112:119], v[60:67], v[156:171]// 000000006B44: D3AE009C 0E727970
	ds_read_b128 a[104:107], v26 offset:4096                   // 000000006B4C: DBFE1000 6800001A
	ds_read_b128 a[108:111], v27 offset:4096                   // 000000006B54: DBFE1000 6C00001B
	ds_read_b128 a[112:115], v26 offset:5120                   // 000000006B5C: DBFE1400 7000001A
	ds_read_b128 a[116:119], v27 offset:5120                   // 000000006B64: DBFE1400 7400001B
	ds_read_b128 a[120:123], v26 offset:6144                   // 000000006B6C: DBFE1800 7800001A
	ds_read_b128 a[124:127], v27 offset:6144                   // 000000006B74: DBFE1800 7C00001B
	v_exp_f32_e32 v46, v46                                     // 000000006B7C: 7E5C412E
	v_exp_f32_e32 v47, v47                                     // 000000006B80: 7E5E412F
	v_exp_f32_e32 v48, v48                                     // 000000006B84: 7E604130
	v_exp_f32_e32 v49, v49                                     // 000000006B88: 7E624131
	v_exp_f32_e32 v50, v50                                     // 000000006B8C: 7E644132
	v_mfma_f32_32x32x64_f8f6f4 v[172:187], a[120:127], v[60:67], v[172:187]// 000000006B90: D3AE00AC 0EB27978
	buffer_load_dwordx4 v217, s[20:23], 0 offen offset:192 lds // 000000006B98: E05D10C0 800500D9
	s_add_i32 m0, m0, 0x3c0                                    // 000000006BA0: 817CFF7C 000003C0
	v_exp_f32_e32 v51, v51                                     // 000000006BA8: 7E664133
	v_exp_f32_e32 v52, v52                                     // 000000006BAC: 7E684134
	v_exp_f32_e32 v53, v53                                     // 000000006BB0: 7E6A4135
	v_exp_f32_e32 v54, v54                                     // 000000006BB4: 7E6C4136
	v_exp_f32_e32 v55, v55                                     // 000000006BB8: 7E6E4137
	v_exp_f32_e32 v56, v56                                     // 000000006BBC: 7E704138
	v_exp_f32_e32 v57, v57                                     // 000000006BC0: 7E724139
	v_mfma_f32_32x32x64_f8f6f4 v[188:203], a[128:135], v[60:67], v[188:203]// 000000006BC4: D3AE00BC 0EF27980
	v_exp_f32_e32 v58, v58                                     // 000000006BCC: 7E74413A
	v_exp_f32_e32 v59, v59                                     // 000000006BD0: 7E76413B
	v_mul_f32_e32 v4, v21, v4                                  // 000000006BD4: 0A080915
	v_mov_b32_e32 v35, v44                                     // 000000006BD8: 7E46032C
	v_add_f32_e32 v35, v45, v35                                // 000000006BDC: 0246472D
	v_add_f32_e32 v35, v46, v35                                // 000000006BE0: 0246472E
	v_add_f32_e32 v35, v47, v35                                // 000000006BE4: 0246472F
	v_add_f32_e32 v35, v48, v35                                // 000000006BE8: 02464730
	ds_read_b128 a[128:131], v26 offset:7168                   // 000000006BEC: DBFE1C00 8000001A
	ds_read_b128 a[132:135], v27 offset:7168                   // 000000006BF4: DBFE1C00 8400001B
	ds_read_b128 a[136:139], v26 offset:8192                   // 000000006BFC: DBFE2000 8800001A
	ds_read_b128 a[140:143], v27 offset:8192                   // 000000006C04: DBFE2000 8C00001B
	v_add_f32_e32 v35, v49, v35                                // 000000006C0C: 02464731
	v_add_f32_e32 v35, v50, v35                                // 000000006C10: 02464732
	v_add_f32_e32 v35, v51, v35                                // 000000006C14: 02464733
	v_add_f32_e32 v35, v52, v35                                // 000000006C18: 02464734
	v_add_f32_e32 v35, v53, v35                                // 000000006C1C: 02464735
	v_add_f32_e32 v35, v54, v35                                // 000000006C20: 02464736
	v_add_f32_e32 v35, v55, v35                                // 000000006C24: 02464737
	v_add_f32_e32 v35, v56, v35                                // 000000006C28: 02464738
	v_add_f32_e32 v35, v57, v35                                // 000000006C2C: 02464739
	v_add_f32_e32 v35, v58, v35                                // 000000006C30: 0246473A
	v_add_f32_e32 v35, v59, v35                                // 000000006C34: 0246473B
	v_add_f32_e32 v4, v35, v4                                  // 000000006C38: 02080923
	v_cvt_pk_fp8_f32 v44, v44, v45                             // 000000006C3C: D2A2002C 00025B2C
	v_cvt_pk_fp8_f32 v44, v46, v47 op_sel:[0,0,1]              // 000000006C44: D2A2402C 00025F2E
	v_cvt_pk_fp8_f32 v45, v48, v49                             // 000000006C4C: D2A2002D 00026330
	v_cvt_pk_fp8_f32 v45, v50, v51 op_sel:[0,0,1]              // 000000006C54: D2A2402D 00026732
	v_cvt_pk_fp8_f32 v46, v52, v53                             // 000000006C5C: D2A2002E 00026B34
	v_cvt_pk_fp8_f32 v46, v54, v55 op_sel:[0,0,1]              // 000000006C64: D2A2402E 00026F36
	v_cvt_pk_fp8_f32 v47, v56, v57                             // 000000006C6C: D2A2002F 00027338
	v_cvt_pk_fp8_f32 v47, v58, v59 op_sel:[0,0,1]              // 000000006C74: D2A2402F 0002773A
	s_waitcnt lgkmcnt(8)                                       // 000000006C7C: BF8CC87F
	v_mfma_f32_32x32x64_f8f6f4 v[60:75], a[72:79], a[0:7], 0   // 000000006C80: D3AE003C 1A020148
	ds_write_b128 v43, v[44:47] offset:1024                    // 000000006C88: D9BE0400 00002C2B
	v_mul_f32_e32 v76, v21, v76                                // 000000006C90: 0A989915
	v_mul_f32_e32 v77, v21, v77                                // 000000006C94: 0A9A9B15
	v_mul_f32_e32 v78, v21, v78                                // 000000006C98: 0A9C9D15
	v_mul_f32_e32 v79, v21, v79                                // 000000006C9C: 0A9E9F15
	v_mul_f32_e32 v80, v21, v80                                // 000000006CA0: 0AA0A115
	v_mul_f32_e32 v81, v21, v81                                // 000000006CA4: 0AA2A315
	v_mul_f32_e32 v82, v21, v82                                // 000000006CA8: 0AA4A515
	v_mul_f32_e32 v83, v21, v83                                // 000000006CAC: 0AA6A715
	v_mul_f32_e32 v84, v21, v84                                // 000000006CB0: 0AA8A915
	v_mul_f32_e32 v85, v21, v85                                // 000000006CB4: 0AAAAB15
	v_mul_f32_e32 v86, v21, v86                                // 000000006CB8: 0AACAD15
	v_mul_f32_e32 v87, v21, v87                                // 000000006CBC: 0AAEAF15
	v_mul_f32_e32 v88, v21, v88                                // 000000006CC0: 0AB0B115
	v_mul_f32_e32 v89, v21, v89                                // 000000006CC4: 0AB2B315
	v_mfma_f32_32x32x64_f8f6f4 v[60:75], a[80:87], a[8:15], v[60:75]// 000000006CC8: D3AE003C 1CF21150
	buffer_load_dword v31, v34, s[24:27], 0 offen              // 000000006CD0: E0501000 80061F22
	buffer_load_dwordx4 v217, s[20:23], 0 offen offset:256 lds // 000000006CD8: E05D1100 800500D9
	s_add_i32 m0, m0, 0x3c0                                    // 000000006CE0: 817CFF7C 000003C0
	v_mul_f32_e32 v90, v21, v90                                // 000000006CE8: 0AB4B515
	v_mul_f32_e32 v91, v21, v91                                // 000000006CEC: 0AB6B715
	v_mul_f32_e32 v92, v21, v92                                // 000000006CF0: 0AB8B915
	v_mul_f32_e32 v93, v21, v93                                // 000000006CF4: 0ABABB15
	v_mul_f32_e32 v94, v21, v94                                // 000000006CF8: 0ABCBD15
	v_mul_f32_e32 v95, v21, v95                                // 000000006CFC: 0ABEBF15
	v_mov_b32_e32 v36, v21                                     // 000000006D00: 7E480315
	v_mov_b32_e32 v37, v21                                     // 000000006D04: 7E4A0315
	v_pk_mul_f32 v[140:141], v[36:37], v[140:141]              // 000000006D08: D3B1408C 18031924
	v_pk_mul_f32 v[142:143], v[36:37], v[142:143]              // 000000006D10: D3B1408E 18031D24
	s_waitcnt lgkmcnt(0)                                       // 000000006D18: BF8CC07F
	s_barrier                                                  // 000000006D1C: BF8A0000
	v_mfma_f32_32x32x64_f8f6f4 v[60:75], a[88:95], a[16:23], v[60:75]// 000000006D20: D3AE003C 1CF22158
	ds_read_b128 v[44:47], v42 offset:1024                     // 000000006D28: D9FE0400 2C00002A
	ds_read_b128 v[48:51], v42 offset:2048                     // 000000006D30: D9FE0800 3000002A
	ds_read_b64_tr_b8 a[72:73], v9                             // 000000006D38: DBC40000 48000009
	ds_read_b64_tr_b8 a[74:75], v10                            // 000000006D40: DBC40000 4A00000A
	ds_read_b64_tr_b8 a[76:77], v9 offset:18432                // 000000006D48: DBC44800 4C000009
	ds_read_b64_tr_b8 a[78:79], v10 offset:18432               // 000000006D50: DBC44800 4E00000A
	ds_read_b64_tr_b8 a[80:81], v11                            // 000000006D58: DBC40000 5000000B
	ds_read_b64_tr_b8 a[82:83], v12                            // 000000006D60: DBC40000 5200000C
	ds_read_b64_tr_b8 a[84:85], v11 offset:18432               // 000000006D68: DBC44800 5400000B
	ds_read_b64_tr_b8 a[86:87], v12 offset:18432               // 000000006D70: DBC44800 5600000C
	v_mul_f32_e32 v96, v21, v96                                // 000000006D78: 0AC0C115
	v_mul_f32_e32 v97, v21, v97                                // 000000006D7C: 0AC2C315
	v_mul_f32_e32 v98, v21, v98                                // 000000006D80: 0AC4C515
	v_mul_f32_e32 v99, v21, v99                                // 000000006D84: 0AC6C715
	v_mul_f32_e32 v100, v21, v100                              // 000000006D88: 0AC8C915
	v_mul_f32_e32 v101, v21, v101                              // 000000006D8C: 0ACACB15
	v_mul_f32_e32 v102, v21, v102                              // 000000006D90: 0ACCCD15
	v_mul_f32_e32 v103, v21, v103                              // 000000006D94: 0ACECF15
	v_mul_f32_e32 v104, v21, v104                              // 000000006D98: 0AD0D115
	v_mul_f32_e32 v105, v21, v105                              // 000000006D9C: 0AD2D315
	v_mul_f32_e32 v106, v21, v106                              // 000000006DA0: 0AD4D515
	v_mul_f32_e32 v107, v21, v107                              // 000000006DA4: 0AD6D715
	v_add_u32_e32 v34, s73, v34                                // 000000006DA8: 68444449
	v_mfma_f32_32x32x64_f8f6f4 v[60:75], a[96:103], a[24:31], v[60:75]// 000000006DAC: D3AE003C 1CF23160
	buffer_load_dwordx4 v217, s[20:23], 0 offen offset:320 lds // 000000006DB4: E05D1140 800500D9
	s_add_i32 m0, m0, 0x3c0                                    // 000000006DBC: 817CFF7C 000003C0
	v_mul_f32_e32 v108, v21, v108                              // 000000006DC4: 0AD8D915
	v_mul_f32_e32 v109, v21, v109                              // 000000006DC8: 0ADADB15
	v_mul_f32_e32 v110, v21, v110                              // 000000006DCC: 0ADCDD15
	v_mul_f32_e32 v111, v21, v111                              // 000000006DD0: 0ADEDF15
	v_mul_f32_e32 v112, v21, v112                              // 000000006DD4: 0AE0E115
	v_mul_f32_e32 v113, v21, v113                              // 000000006DD8: 0AE2E315
	v_mul_f32_e32 v114, v21, v114                              // 000000006DDC: 0AE4E515
	v_mul_f32_e32 v115, v21, v115                              // 000000006DE0: 0AE6E715
	v_mul_f32_e32 v116, v21, v116                              // 000000006DE4: 0AE8E915
	v_mul_f32_e32 v117, v21, v117                              // 000000006DE8: 0AEAEB15
	v_mul_f32_e32 v118, v21, v118                              // 000000006DEC: 0AECED15
	v_mul_f32_e32 v119, v21, v119                              // 000000006DF0: 0AEEEF15
	v_mfma_f32_32x32x64_f8f6f4 v[60:75], a[104:111], a[32:39], v[60:75]// 000000006DF4: D3AE003C 1CF24168
	ds_read_b64_tr_b8 a[88:89], v9 offset:1024                 // 000000006DFC: DBC40400 58000009
	ds_read_b64_tr_b8 a[90:91], v10 offset:1024                // 000000006E04: DBC40400 5A00000A
	ds_read_b64_tr_b8 a[92:93], v9 offset:19456                // 000000006E0C: DBC44C00 5C000009
	ds_read_b64_tr_b8 a[94:95], v10 offset:19456               // 000000006E14: DBC44C00 5E00000A
	ds_read_b64_tr_b8 a[96:97], v11 offset:1024                // 000000006E1C: DBC40400 6000000B
	ds_read_b64_tr_b8 a[98:99], v12 offset:1024                // 000000006E24: DBC40400 6200000C
	ds_read_b64_tr_b8 a[100:101], v11 offset:19456             // 000000006E2C: DBC44C00 6400000B
	ds_read_b64_tr_b8 a[102:103], v12 offset:19456             // 000000006E34: DBC44C00 6600000C
	v_mul_f32_e32 v120, v21, v120                              // 000000006E3C: 0AF0F115
	v_mul_f32_e32 v121, v21, v121                              // 000000006E40: 0AF2F315
	v_mul_f32_e32 v122, v21, v122                              // 000000006E44: 0AF4F515
	v_mul_f32_e32 v123, v21, v123                              // 000000006E48: 0AF6F715
	v_mul_f32_e32 v124, v21, v124                              // 000000006E4C: 0AF8F915
	v_mul_f32_e32 v125, v21, v125                              // 000000006E50: 0AFAFB15
	v_mul_f32_e32 v126, v21, v126                              // 000000006E54: 0AFCFD15
	v_mul_f32_e32 v127, v21, v127                              // 000000006E58: 0AFEFF15
	v_mul_f32_e32 v128, v21, v128                              // 000000006E5C: 0B010115
	v_mul_f32_e32 v129, v21, v129                              // 000000006E60: 0B030315
	v_mul_f32_e32 v130, v21, v130                              // 000000006E64: 0B050515
	v_mul_f32_e32 v131, v21, v131                              // 000000006E68: 0B070715
	v_mfma_f32_32x32x64_f8f6f4 v[60:75], a[112:119], a[40:47], v[60:75]// 000000006E6C: D3AE003C 1CF25170
	s_waitcnt lgkmcnt(0)                                       // 000000006E74: BF8CC07F
	buffer_load_dwordx4 v217, s[20:23], 0 offen offset:384 lds // 000000006E78: E05D1180 800500D9
	s_add_i32 m0, m0, 0x3c0                                    // 000000006E80: 817CFF7C 000003C0
	v_mul_f32_e32 v132, v21, v132                              // 000000006E88: 0B090915
	v_mul_f32_e32 v133, v21, v133                              // 000000006E8C: 0B0B0B15
	v_mul_f32_e32 v134, v21, v134                              // 000000006E90: 0B0D0D15
	v_mul_f32_e32 v135, v21, v135                              // 000000006E94: 0B0F0F15
	v_mul_f32_e32 v136, v21, v136                              // 000000006E98: 0B111115
	v_mul_f32_e32 v137, v21, v137                              // 000000006E9C: 0B131315
	v_mul_f32_e32 v138, v21, v138                              // 000000006EA0: 0B151515
	v_mul_f32_e32 v139, v21, v139                              // 000000006EA4: 0B171715
	v_mfma_f32_32x32x64_f8f6f4 v[60:75], a[120:127], a[48:55], v[60:75]// 000000006EA8: D3AE003C 1CF26178
	ds_read_b64_tr_b8 a[104:105], v9 offset:2048               // 000000006EB0: DBC40800 68000009
	ds_read_b64_tr_b8 a[106:107], v10 offset:2048              // 000000006EB8: DBC40800 6A00000A
	ds_read_b64_tr_b8 a[108:109], v9 offset:20480              // 000000006EC0: DBC45000 6C000009
	ds_read_b64_tr_b8 a[110:111], v10 offset:20480             // 000000006EC8: DBC45000 6E00000A
	ds_read_b64_tr_b8 a[112:113], v11 offset:2048              // 000000006ED0: DBC40800 7000000B
	ds_read_b64_tr_b8 a[114:115], v12 offset:2048              // 000000006ED8: DBC40800 7200000C
	ds_read_b64_tr_b8 a[116:117], v11 offset:20480             // 000000006EE0: DBC45000 7400000B
	ds_read_b64_tr_b8 a[118:119], v12 offset:20480             // 000000006EE8: DBC45000 7600000C
	v_permlane32_swap_b32_e32 v44, v46                         // 000000006EF0: 7E58B52E
	v_permlane32_swap_b32_e32 v45, v47                         // 000000006EF4: 7E5AB52F
	v_swap_b32 v45, v46                                        // 000000006EF8: 7E5AA32E
	v_permlane32_swap_b32_e32 v48, v50                         // 000000006EFC: 7E60B532
	v_permlane32_swap_b32_e32 v49, v51                         // 000000006F00: 7E62B533
	v_swap_b32 v49, v50                                        // 000000006F04: 7E62A332
	v_mfma_f32_32x32x64_f8f6f4 v[60:75], a[128:135], a[56:63], v[60:75]// 000000006F08: D3AE003C 1CF27180
	buffer_load_dwordx4 v217, s[20:23], 0 offen offset:448 lds // 000000006F10: E05D11C0 800500D9
	s_add_i32 m0, m0, 0x3c0                                    // 000000006F18: 817CFF7C 000003C0
	v_pk_mul_f32 v[144:145], v[36:37], v[144:145]              // 000000006F20: D3B14090 18032124
	v_pk_mul_f32 v[146:147], v[36:37], v[146:147]              // 000000006F28: D3B14092 18032524
	v_pk_mul_f32 v[148:149], v[36:37], v[148:149]              // 000000006F30: D3B14094 18032924
	v_pk_mul_f32 v[150:151], v[36:37], v[150:151]              // 000000006F38: D3B14096 18032D24
	v_pk_mul_f32 v[152:153], v[36:37], v[152:153]              // 000000006F40: D3B14098 18033124
	v_pk_mul_f32 v[154:155], v[36:37], v[154:155]              // 000000006F48: D3B1409A 18033524
	v_pk_mul_f32 v[156:157], v[36:37], v[156:157]              // 000000006F50: D3B1409C 18033924
	v_pk_mul_f32 v[158:159], v[36:37], v[158:159]              // 000000006F58: D3B1409E 18033D24
	v_pk_mul_f32 v[160:161], v[36:37], v[160:161]              // 000000006F60: D3B140A0 18034124
	v_pk_mul_f32 v[162:163], v[36:37], v[162:163]              // 000000006F68: D3B140A2 18034524
	v_pk_mul_f32 v[164:165], v[36:37], v[164:165]              // 000000006F70: D3B140A4 18034924
	v_pk_mul_f32 v[166:167], v[36:37], v[166:167]              // 000000006F78: D3B140A6 18034D24
	v_pk_mul_f32 v[168:169], v[36:37], v[168:169]              // 000000006F80: D3B140A8 18035124
	v_pk_mul_f32 v[170:171], v[36:37], v[170:171]              // 000000006F88: D3B140AA 18035524
	v_pk_mul_f32 v[172:173], v[36:37], v[172:173]              // 000000006F90: D3B140AC 18035924
	v_pk_mul_f32 v[174:175], v[36:37], v[174:175]              // 000000006F98: D3B140AE 18035D24
	v_pk_mul_f32 v[176:177], v[36:37], v[176:177]              // 000000006FA0: D3B140B0 18036124
	v_pk_mul_f32 v[178:179], v[36:37], v[178:179]              // 000000006FA8: D3B140B2 18036524
	v_pk_mul_f32 v[180:181], v[36:37], v[180:181]              // 000000006FB0: D3B140B4 18036924
	v_pk_mul_f32 v[182:183], v[36:37], v[182:183]              // 000000006FB8: D3B140B6 18036D24
	v_pk_mul_f32 v[184:185], v[36:37], v[184:185]              // 000000006FC0: D3B140B8 18037124
	v_pk_mul_f32 v[186:187], v[36:37], v[186:187]              // 000000006FC8: D3B140BA 18037524
	v_pk_mul_f32 v[188:189], v[36:37], v[188:189]              // 000000006FD0: D3B140BC 18037924
	v_pk_mul_f32 v[190:191], v[36:37], v[190:191]              // 000000006FD8: D3B140BE 18037D24
	v_pk_mul_f32 v[192:193], v[36:37], v[192:193]              // 000000006FE0: D3B140C0 18038124
	v_pk_mul_f32 v[194:195], v[36:37], v[194:195]              // 000000006FE8: D3B140C2 18038524
	v_pk_mul_f32 v[196:197], v[36:37], v[196:197]              // 000000006FF0: D3B140C4 18038924
	v_pk_mul_f32 v[198:199], v[36:37], v[198:199]              // 000000006FF8: D3B140C6 18038D24
	v_pk_mul_f32 v[200:201], v[36:37], v[200:201]              // 000000007000: D3B140C8 18039124
	v_pk_mul_f32 v[202:203], v[36:37], v[202:203]              // 000000007008: D3B140CA 18039524
	v_mfma_f32_32x32x64_f8f6f4 v[60:75], a[136:143], a[64:71], v[60:75]// 000000007010: D3AE003C 1CF28188
	ds_read_b64_tr_b8 a[120:121], v9 offset:3072               // 000000007018: DBC40C00 78000009
	ds_read_b64_tr_b8 a[122:123], v10 offset:3072              // 000000007020: DBC40C00 7A00000A
	ds_read_b64_tr_b8 a[124:125], v9 offset:21504              // 000000007028: DBC45400 7C000009
	ds_read_b64_tr_b8 a[126:127], v10 offset:21504             // 000000007030: DBC45400 7E00000A
	ds_read_b64_tr_b8 a[128:129], v11 offset:3072              // 000000007038: DBC40C00 8000000B
	ds_read_b64_tr_b8 a[130:131], v12 offset:3072              // 000000007040: DBC40C00 8200000C
	ds_read_b64_tr_b8 a[132:133], v11 offset:21504             // 000000007048: DBC45400 8400000B
	ds_read_b64_tr_b8 a[134:135], v12 offset:21504             // 000000007050: DBC45400 8600000C
	buffer_load_dwordx4 v217, s[20:23], 0 offen offset:512 lds // 000000007058: E05D1200 800500D9
	s_add_i32 m0, m0, 0x3c0                                    // 000000007060: 817CFF7C 000003C0
	s_addk_i32 s70, 0x1                                        // 000000007068: B7460001
	s_cmp_lt_i32 s70, s71                                      // 00000000706C: BF044746
	s_cbranch_scc0 label_2F98                                  // 000000007070: BF84F8C9
	s_branch label_2FA4                                        // 000000007074: BF82F8CB

0000000000007078 <label_4C78>:
	ds_read_b64_tr_b8 a[72:73], v9                             // 000000007078: DBC40000 48000009
	ds_read_b64_tr_b8 a[74:75], v10                            // 000000007080: DBC40000 4A00000A
	ds_read_b64_tr_b8 a[76:77], v9 offset:18432                // 000000007088: DBC44800 4C000009
	ds_read_b64_tr_b8 a[78:79], v10 offset:18432               // 000000007090: DBC44800 4E00000A
	ds_read_b64_tr_b8 a[80:81], v11                            // 000000007098: DBC40000 5000000B
	ds_read_b64_tr_b8 a[82:83], v12                            // 0000000070A0: DBC40000 5200000C
	ds_read_b64_tr_b8 a[84:85], v11 offset:18432               // 0000000070A8: DBC44800 5400000B
	ds_read_b64_tr_b8 a[86:87], v12 offset:18432               // 0000000070B0: DBC44800 5600000C
	ds_read_b64_tr_b8 a[88:89], v9 offset:1024                 // 0000000070B8: DBC40400 58000009
	ds_read_b64_tr_b8 a[90:91], v10 offset:1024                // 0000000070C0: DBC40400 5A00000A
	ds_read_b64_tr_b8 a[92:93], v9 offset:19456                // 0000000070C8: DBC44C00 5C000009
	ds_read_b64_tr_b8 a[94:95], v10 offset:19456               // 0000000070D0: DBC44C00 5E00000A
	ds_read_b64_tr_b8 a[96:97], v11 offset:1024                // 0000000070D8: DBC40400 6000000B
	ds_read_b64_tr_b8 a[98:99], v12 offset:1024                // 0000000070E0: DBC40400 6200000C
	ds_read_b64_tr_b8 a[100:101], v11 offset:19456             // 0000000070E8: DBC44C00 6400000B
	ds_read_b64_tr_b8 a[102:103], v12 offset:19456             // 0000000070F0: DBC44C00 6600000C
	ds_read_b64_tr_b8 a[104:105], v9 offset:2048               // 0000000070F8: DBC40800 68000009
	ds_read_b64_tr_b8 a[106:107], v10 offset:2048              // 000000007100: DBC40800 6A00000A
	ds_read_b64_tr_b8 a[108:109], v9 offset:20480              // 000000007108: DBC45000 6C000009
	ds_read_b64_tr_b8 a[110:111], v10 offset:20480             // 000000007110: DBC45000 6E00000A
	ds_read_b64_tr_b8 a[112:113], v11 offset:2048              // 000000007118: DBC40800 7000000B
	ds_read_b64_tr_b8 a[114:115], v12 offset:2048              // 000000007120: DBC40800 7200000C
	ds_read_b64_tr_b8 a[116:117], v11 offset:20480             // 000000007128: DBC45000 7400000B
	ds_read_b64_tr_b8 a[118:119], v12 offset:20480             // 000000007130: DBC45000 7600000C
	ds_read_b64_tr_b8 a[120:121], v9 offset:3072               // 000000007138: DBC40C00 78000009
	ds_read_b64_tr_b8 a[122:123], v10 offset:3072              // 000000007140: DBC40C00 7A00000A
	ds_read_b64_tr_b8 a[124:125], v9 offset:21504              // 000000007148: DBC45400 7C000009
	ds_read_b64_tr_b8 a[126:127], v10 offset:21504             // 000000007150: DBC45400 7E00000A
	ds_read_b64_tr_b8 a[128:129], v11 offset:3072              // 000000007158: DBC40C00 8000000B
	ds_read_b64_tr_b8 a[130:131], v12 offset:3072              // 000000007160: DBC40C00 8200000C
	ds_read_b64_tr_b8 a[132:133], v11 offset:21504             // 000000007168: DBC45400 8400000B
	ds_read_b64_tr_b8 a[134:135], v12 offset:21504             // 000000007170: DBC45400 8600000C
	s_waitcnt lgkmcnt(4)                                       // 000000007178: BF8CC47F
	v_mfma_f32_32x32x64_f8f6f4 v[76:91], a[72:79], v[44:51], v[76:91]// 00000000717C: D3AE004C 0D325948
	ds_read_b128 a[72:75], v26                                 // 000000007184: DBFE0000 4800001A
	ds_read_b128 a[76:79], v27                                 // 00000000718C: DBFE0000 4C00001B
	v_mfma_f32_32x32x64_f8f6f4 v[92:107], a[80:87], v[44:51], v[92:107]// 000000007194: D3AE005C 0D725950
	ds_read_b128 a[80:83], v26 offset:1024                     // 00000000719C: DBFE0400 5000001A
	ds_read_b128 a[84:87], v27 offset:1024                     // 0000000071A4: DBFE0400 5400001B
	v_mfma_f32_32x32x64_f8f6f4 v[108:123], a[88:95], v[44:51], v[108:123]// 0000000071AC: D3AE006C 0DB25958
	ds_read_b128 a[88:91], v26 offset:2048                     // 0000000071B4: DBFE0800 5800001A
	ds_read_b128 a[92:95], v27 offset:2048                     // 0000000071BC: DBFE0800 5C00001B
	v_mfma_f32_32x32x64_f8f6f4 v[124:139], a[96:103], v[44:51], v[124:139]// 0000000071C4: D3AE007C 0DF25960
	ds_read_b128 a[96:99], v26 offset:3072                     // 0000000071CC: DBFE0C00 6000001A
	ds_read_b128 a[100:103], v27 offset:3072                   // 0000000071D4: DBFE0C00 6400001B
	v_mfma_f32_32x32x64_f8f6f4 v[140:155], a[104:111], v[44:51], v[140:155]// 0000000071DC: D3AE008C 0E325968
	ds_read_b128 a[104:107], v26 offset:4096                   // 0000000071E4: DBFE1000 6800001A
	ds_read_b128 a[108:111], v27 offset:4096                   // 0000000071EC: DBFE1000 6C00001B
	v_mfma_f32_32x32x64_f8f6f4 v[156:171], a[112:119], v[44:51], v[156:171]// 0000000071F4: D3AE009C 0E725970
	ds_read_b128 a[112:115], v26 offset:5120                   // 0000000071FC: DBFE1400 7000001A
	ds_read_b128 a[116:119], v27 offset:5120                   // 000000007204: DBFE1400 7400001B
	v_mfma_f32_32x32x64_f8f6f4 v[172:187], a[120:127], v[44:51], v[172:187]// 00000000720C: D3AE00AC 0EB25978
	ds_read_b128 a[120:123], v26 offset:6144                   // 000000007214: DBFE1800 7800001A
	ds_read_b128 a[124:127], v27 offset:6144                   // 00000000721C: DBFE1800 7C00001B
	v_mfma_f32_32x32x64_f8f6f4 v[188:203], a[128:135], v[44:51], v[188:203]// 000000007224: D3AE00BC 0EF25980
	ds_read_b128 a[128:131], v26 offset:7168                   // 00000000722C: DBFE1C00 8000001A
	ds_read_b128 a[132:135], v27 offset:7168                   // 000000007234: DBFE1C00 8400001B
	ds_read_b128 a[136:139], v26 offset:8192                   // 00000000723C: DBFE2000 8800001A
	ds_read_b128 a[140:143], v27 offset:8192                   // 000000007244: DBFE2000 8C00001B
	s_branch label_6C34                                        // 00000000724C: BF820779

0000000000007250 <label_4E50>:
	s_and_b32 s56, 3, s71                                      // 000000007250: 86384783
	s_cmp_eq_i32 s56, 1                                        // 000000007254: BF008138
	s_cbranch_scc1 label_4E74                                  // 000000007258: BF850006
	s_cmp_eq_i32 s56, 2                                        // 00000000725C: BF008238
	s_cbranch_scc1 label_55E4                                  // 000000007260: BF8501E0
	s_cmp_eq_i32 s56, 3                                        // 000000007264: BF008338
	s_cbranch_scc1 label_5D54                                  // 000000007268: BF8503BA
	s_cmp_eq_i32 s56, 0                                        // 00000000726C: BF008038
	s_cbranch_scc1 label_64C4                                  // 000000007270: BF850594

0000000000007274 <label_4E74>:
	s_nop 2                                                    // 000000007274: BF800002
	v_mov_b32_e32 v213, v44                                    // 000000007278: 7FAA032C
	v_max3_f32 v213, v44, v45, v213                            // 00000000727C: D1D300D5 07565B2C
	v_max3_f32 v213, v46, v47, v213                            // 000000007284: D1D300D5 07565F2E
	v_max3_f32 v213, v48, v49, v213                            // 00000000728C: D1D300D5 07566330
	v_max3_f32 v213, v50, v51, v213                            // 000000007294: D1D300D5 07566732
	v_max3_f32 v213, v52, v53, v213                            // 00000000729C: D1D300D5 07566B34
	v_max3_f32 v213, v54, v55, v213                            // 0000000072A4: D1D300D5 07566F36
	v_max3_f32 v213, v56, v57, v213                            // 0000000072AC: D1D300D5 07567338
	v_max3_f32 v213, v58, v59, v213                            // 0000000072B4: D1D300D5 0756773A
	v_mov_b32_e32 v35, v213                                    // 0000000072BC: 7E4603D5
	v_mov_b32_e32 v36, v213                                    // 0000000072C0: 7E4803D5
	s_nop 1                                                    // 0000000072C4: BF800001
	v_permlane32_swap_b32_e32 v35, v36                         // 0000000072C8: 7E46B524
	v_max3_f32 v213, v35, v36, v213                            // 0000000072CC: D1D300D5 07564923
	ds_write_b32 v41, v213                                     // 0000000072D4: D81A0000 0000D529
	s_waitcnt lgkmcnt(0)                                       // 0000000072DC: BF8CC07F
	s_barrier                                                  // 0000000072E0: BF8A0000
	ds_read_b32 v35, v40                                       // 0000000072E4: D86C0000 23000028
	ds_read_b32 v36, v40 offset:256                            // 0000000072EC: D86C0100 24000028
	s_waitcnt lgkmcnt(0)                                       // 0000000072F4: BF8CC07F
	v_max3_f32 v213, v35, v36, v213                            // 0000000072F8: D1D300D5 07564923
	v_mov_b32_e32 v35, 0xff800000                              // 000000007300: 7E4602FF FF800000
	v_cmp_eq_u32_e64 s[36:37], v35, v2                         // 000000007308: D0CA0024 00020523
	v_max_f32_e32 v216, v213, v2                               // 000000007310: 17B005D5
	v_sub_f32_e32 v21, v2, v216                                // 000000007314: 042BB102
	v_cndmask_b32_e64 v21, v21, 0, s[36:37]                    // 000000007318: D1000015 00910115
	v_mov_b32_e32 v2, v216                                     // 000000007320: 7E0403D8
	v_mul_f32_e32 v212, s5, v216                               // 000000007324: 0BA9B005
	v_mul_f32_e32 v21, s5, v21                                 // 000000007328: 0A2A2A05
	v_exp_f32_e32 v21, v21                                     // 00000000732C: 7E2A4115
	v_fma_f32 v44, v44, s5, -v212                              // 000000007330: D1CB002C 87500B2C
	v_fma_f32 v45, v45, s5, -v212                              // 000000007338: D1CB002D 87500B2D
	v_fma_f32 v46, v46, s5, -v212                              // 000000007340: D1CB002E 87500B2E
	v_fma_f32 v47, v47, s5, -v212                              // 000000007348: D1CB002F 87500B2F
	v_fma_f32 v48, v48, s5, -v212                              // 000000007350: D1CB0030 87500B30
	v_fma_f32 v49, v49, s5, -v212                              // 000000007358: D1CB0031 87500B31
	v_fma_f32 v50, v50, s5, -v212                              // 000000007360: D1CB0032 87500B32
	v_fma_f32 v51, v51, s5, -v212                              // 000000007368: D1CB0033 87500B33
	v_fma_f32 v52, v52, s5, -v212                              // 000000007370: D1CB0034 87500B34
	v_fma_f32 v53, v53, s5, -v212                              // 000000007378: D1CB0035 87500B35
	v_fma_f32 v54, v54, s5, -v212                              // 000000007380: D1CB0036 87500B36
	v_fma_f32 v55, v55, s5, -v212                              // 000000007388: D1CB0037 87500B37
	v_fma_f32 v56, v56, s5, -v212                              // 000000007390: D1CB0038 87500B38
	v_fma_f32 v57, v57, s5, -v212                              // 000000007398: D1CB0039 87500B39
	v_fma_f32 v58, v58, s5, -v212                              // 0000000073A0: D1CB003A 87500B3A
	v_fma_f32 v59, v59, s5, -v212                              // 0000000073A8: D1CB003B 87500B3B
	v_mov_b32_e32 v35, 0xffc00000                              // 0000000073B0: 7E4602FF FFC00000
	v_exp_f32_e32 v44, v44                                     // 0000000073B8: 7E58412C
	v_exp_f32_e32 v45, v45                                     // 0000000073BC: 7E5A412D
	v_exp_f32_e32 v46, v46                                     // 0000000073C0: 7E5C412E
	v_exp_f32_e32 v47, v47                                     // 0000000073C4: 7E5E412F
	v_exp_f32_e32 v48, v48                                     // 0000000073C8: 7E604130
	v_exp_f32_e32 v49, v49                                     // 0000000073CC: 7E624131
	v_exp_f32_e32 v50, v50                                     // 0000000073D0: 7E644132
	v_exp_f32_e32 v51, v51                                     // 0000000073D4: 7E664133
	v_exp_f32_e32 v52, v52                                     // 0000000073D8: 7E684134
	v_exp_f32_e32 v53, v53                                     // 0000000073DC: 7E6A4135
	v_exp_f32_e32 v54, v54                                     // 0000000073E0: 7E6C4136
	v_exp_f32_e32 v55, v55                                     // 0000000073E4: 7E6E4137
	v_exp_f32_e32 v56, v56                                     // 0000000073E8: 7E704138
	v_exp_f32_e32 v57, v57                                     // 0000000073EC: 7E724139
	v_exp_f32_e32 v58, v58                                     // 0000000073F0: 7E74413A
	v_exp_f32_e32 v59, v59                                     // 0000000073F4: 7E76413B
	v_mul_f32_e32 v4, v21, v4                                  // 0000000073F8: 0A080915
	v_mov_b32_e32 v35, v44                                     // 0000000073FC: 7E46032C
	v_add_f32_e32 v35, v45, v35                                // 000000007400: 0246472D
	v_add_f32_e32 v35, v46, v35                                // 000000007404: 0246472E
	v_add_f32_e32 v35, v47, v35                                // 000000007408: 0246472F
	v_add_f32_e32 v35, v48, v35                                // 00000000740C: 02464730
	v_add_f32_e32 v35, v49, v35                                // 000000007410: 02464731
	v_add_f32_e32 v35, v50, v35                                // 000000007414: 02464732
	;; [unrolled: 1-line block ×3, first 2 shown]
	v_add_f32_e32 v35, v52, v35                                // 00000000741C: 02464734
	v_add_f32_e32 v35, v53, v35                                // 000000007420: 02464735
	v_add_f32_e32 v35, v54, v35                                // 000000007424: 02464736
	;; [unrolled: 1-line block ×3, first 2 shown]
	v_add_f32_e32 v35, v56, v35                                // 00000000742C: 02464738
	v_add_f32_e32 v35, v57, v35                                // 000000007430: 02464739
	v_add_f32_e32 v35, v58, v35                                // 000000007434: 0246473A
	v_add_f32_e32 v35, v59, v35                                // 000000007438: 0246473B
	v_add_f32_e32 v4, v35, v4                                  // 00000000743C: 02080923
	v_cvt_pk_fp8_f32 v44, v44, v45                             // 000000007440: D2A2002C 00025B2C
	v_cvt_pk_fp8_f32 v44, v46, v47 op_sel:[0,0,1]              // 000000007448: D2A2402C 00025F2E
	v_cvt_pk_fp8_f32 v45, v48, v49                             // 000000007450: D2A2002D 00026330
	v_cvt_pk_fp8_f32 v45, v50, v51 op_sel:[0,0,1]              // 000000007458: D2A2402D 00026732
	v_cvt_pk_fp8_f32 v46, v52, v53                             // 000000007460: D2A2002E 00026B34
	v_cvt_pk_fp8_f32 v46, v54, v55 op_sel:[0,0,1]              // 000000007468: D2A2402E 00026F36
	v_cvt_pk_fp8_f32 v47, v56, v57                             // 000000007470: D2A2002F 00027338
	v_cvt_pk_fp8_f32 v47, v58, v59 op_sel:[0,0,1]              // 000000007478: D2A2402F 0002773A
	ds_write_b128 v43, v[44:47] offset:1024                    // 000000007480: D9BE0400 00002C2B
	s_waitcnt lgkmcnt(0)                                       // 000000007488: BF8CC07F
	s_barrier                                                  // 00000000748C: BF8A0000
	ds_read_b128 v[44:47], v42 offset:1024                     // 000000007490: D9FE0400 2C00002A
	ds_read_b128 v[48:51], v42 offset:2048                     // 000000007498: D9FE0800 3000002A
	s_waitcnt lgkmcnt(0)                                       // 0000000074A0: BF8CC07F
	v_permlane32_swap_b32_e32 v44, v46                         // 0000000074A4: 7E58B52E
	v_permlane32_swap_b32_e32 v45, v47                         // 0000000074A8: 7E5AB52F
	v_swap_b32 v45, v46                                        // 0000000074AC: 7E5AA32E
	v_permlane32_swap_b32_e32 v48, v50                         // 0000000074B0: 7E60B532
	v_permlane32_swap_b32_e32 v49, v51                         // 0000000074B4: 7E62B533
	v_swap_b32 v49, v50                                        // 0000000074B8: 7E62A332
	ds_read_b64_tr_b8 a[72:73], v5                             // 0000000074BC: DBC40000 48000005
	ds_read_b64_tr_b8 a[74:75], v6                             // 0000000074C4: DBC40000 4A000006
	ds_read_b64_tr_b8 a[76:77], v5 offset:18432                // 0000000074CC: DBC44800 4C000005
	ds_read_b64_tr_b8 a[78:79], v6 offset:18432                // 0000000074D4: DBC44800 4E000006
	ds_read_b64_tr_b8 a[80:81], v7                             // 0000000074DC: DBC40000 50000007
	ds_read_b64_tr_b8 a[82:83], v8                             // 0000000074E4: DBC40000 52000008
	ds_read_b64_tr_b8 a[84:85], v7 offset:18432                // 0000000074EC: DBC44800 54000007
	ds_read_b64_tr_b8 a[86:87], v8 offset:18432                // 0000000074F4: DBC44800 56000008
	ds_read_b64_tr_b8 a[88:89], v5 offset:1024                 // 0000000074FC: DBC40400 58000005
	ds_read_b64_tr_b8 a[90:91], v6 offset:1024                 // 000000007504: DBC40400 5A000006
	ds_read_b64_tr_b8 a[92:93], v5 offset:19456                // 00000000750C: DBC44C00 5C000005
	ds_read_b64_tr_b8 a[94:95], v6 offset:19456                // 000000007514: DBC44C00 5E000006
	ds_read_b64_tr_b8 a[96:97], v7 offset:1024                 // 00000000751C: DBC40400 60000007
	ds_read_b64_tr_b8 a[98:99], v8 offset:1024                 // 000000007524: DBC40400 62000008
	ds_read_b64_tr_b8 a[100:101], v7 offset:19456              // 00000000752C: DBC44C00 64000007
	ds_read_b64_tr_b8 a[102:103], v8 offset:19456              // 000000007534: DBC44C00 66000008
	ds_read_b64_tr_b8 a[104:105], v5 offset:2048               // 00000000753C: DBC40800 68000005
	ds_read_b64_tr_b8 a[106:107], v6 offset:2048               // 000000007544: DBC40800 6A000006
	ds_read_b64_tr_b8 a[108:109], v5 offset:20480              // 00000000754C: DBC45000 6C000005
	ds_read_b64_tr_b8 a[110:111], v6 offset:20480              // 000000007554: DBC45000 6E000006
	ds_read_b64_tr_b8 a[112:113], v7 offset:2048               // 00000000755C: DBC40800 70000007
	ds_read_b64_tr_b8 a[114:115], v8 offset:2048               // 000000007564: DBC40800 72000008
	ds_read_b64_tr_b8 a[116:117], v7 offset:20480              // 00000000756C: DBC45000 74000007
	ds_read_b64_tr_b8 a[118:119], v8 offset:20480              // 000000007574: DBC45000 76000008
	ds_read_b64_tr_b8 a[120:121], v5 offset:3072               // 00000000757C: DBC40C00 78000005
	ds_read_b64_tr_b8 a[122:123], v6 offset:3072               // 000000007584: DBC40C00 7A000006
	ds_read_b64_tr_b8 a[124:125], v5 offset:21504              // 00000000758C: DBC45400 7C000005
	ds_read_b64_tr_b8 a[126:127], v6 offset:21504              // 000000007594: DBC45400 7E000006
	ds_read_b64_tr_b8 a[128:129], v7 offset:3072               // 00000000759C: DBC40C00 80000007
	ds_read_b64_tr_b8 a[130:131], v8 offset:3072               // 0000000075A4: DBC40C00 82000008
	ds_read_b64_tr_b8 a[132:133], v7 offset:21504              // 0000000075AC: DBC45400 84000007
	ds_read_b64_tr_b8 a[134:135], v8 offset:21504              // 0000000075B4: DBC45400 86000008
	s_waitcnt lgkmcnt(4)                                       // 0000000075BC: BF8CC47F
	v_mfma_f32_32x32x64_f8f6f4 v[76:91], a[72:79], v[60:67], v[76:91]// 0000000075C0: D3AE004C 0D327948
	ds_read_b64_tr_b8 a[72:73], v9                             // 0000000075C8: DBC40000 48000009
	ds_read_b64_tr_b8 a[74:75], v10                            // 0000000075D0: DBC40000 4A00000A
	ds_read_b64_tr_b8 a[76:77], v9 offset:18432                // 0000000075D8: DBC44800 4C000009
	ds_read_b64_tr_b8 a[78:79], v10 offset:18432               // 0000000075E0: DBC44800 4E00000A
	v_mfma_f32_32x32x64_f8f6f4 v[92:107], a[80:87], v[60:67], v[92:107]// 0000000075E8: D3AE005C 0D727950
	ds_read_b64_tr_b8 a[80:81], v11                            // 0000000075F0: DBC40000 5000000B
	ds_read_b64_tr_b8 a[82:83], v12                            // 0000000075F8: DBC40000 5200000C
	ds_read_b64_tr_b8 a[84:85], v11 offset:18432               // 000000007600: DBC44800 5400000B
	ds_read_b64_tr_b8 a[86:87], v12 offset:18432               // 000000007608: DBC44800 5600000C
	v_mfma_f32_32x32x64_f8f6f4 v[108:123], a[88:95], v[60:67], v[108:123]// 000000007610: D3AE006C 0DB27958
	ds_read_b64_tr_b8 a[88:89], v9 offset:1024                 // 000000007618: DBC40400 58000009
	ds_read_b64_tr_b8 a[90:91], v10 offset:1024                // 000000007620: DBC40400 5A00000A
	ds_read_b64_tr_b8 a[92:93], v9 offset:19456                // 000000007628: DBC44C00 5C000009
	ds_read_b64_tr_b8 a[94:95], v10 offset:19456               // 000000007630: DBC44C00 5E00000A
	v_mfma_f32_32x32x64_f8f6f4 v[124:139], a[96:103], v[60:67], v[124:139]// 000000007638: D3AE007C 0DF27960
	ds_read_b64_tr_b8 a[96:97], v11 offset:1024                // 000000007640: DBC40400 6000000B
	ds_read_b64_tr_b8 a[98:99], v12 offset:1024                // 000000007648: DBC40400 6200000C
	ds_read_b64_tr_b8 a[100:101], v11 offset:19456             // 000000007650: DBC44C00 6400000B
	ds_read_b64_tr_b8 a[102:103], v12 offset:19456             // 000000007658: DBC44C00 6600000C
	v_mfma_f32_32x32x64_f8f6f4 v[140:155], a[104:111], v[60:67], v[140:155]// 000000007660: D3AE008C 0E327968
	ds_read_b64_tr_b8 a[104:105], v9 offset:2048               // 000000007668: DBC40800 68000009
	ds_read_b64_tr_b8 a[106:107], v10 offset:2048              // 000000007670: DBC40800 6A00000A
	ds_read_b64_tr_b8 a[108:109], v9 offset:20480              // 000000007678: DBC45000 6C000009
	ds_read_b64_tr_b8 a[110:111], v10 offset:20480             // 000000007680: DBC45000 6E00000A
	v_mfma_f32_32x32x64_f8f6f4 v[156:171], a[112:119], v[60:67], v[156:171]// 000000007688: D3AE009C 0E727970
	ds_read_b64_tr_b8 a[112:113], v11 offset:2048              // 000000007690: DBC40800 7000000B
	ds_read_b64_tr_b8 a[114:115], v12 offset:2048              // 000000007698: DBC40800 7200000C
	ds_read_b64_tr_b8 a[116:117], v11 offset:20480             // 0000000076A0: DBC45000 7400000B
	ds_read_b64_tr_b8 a[118:119], v12 offset:20480             // 0000000076A8: DBC45000 7600000C
	v_mfma_f32_32x32x64_f8f6f4 v[172:187], a[120:127], v[60:67], v[172:187]// 0000000076B0: D3AE00AC 0EB27978
	ds_read_b64_tr_b8 a[120:121], v9 offset:3072               // 0000000076B8: DBC40C00 78000009
	ds_read_b64_tr_b8 a[122:123], v10 offset:3072              // 0000000076C0: DBC40C00 7A00000A
	ds_read_b64_tr_b8 a[124:125], v9 offset:21504              // 0000000076C8: DBC45400 7C000009
	ds_read_b64_tr_b8 a[126:127], v10 offset:21504             // 0000000076D0: DBC45400 7E00000A
	v_mfma_f32_32x32x64_f8f6f4 v[188:203], a[128:135], v[60:67], v[188:203]// 0000000076D8: D3AE00BC 0EF27980
	ds_read_b64_tr_b8 a[128:129], v11 offset:3072              // 0000000076E0: DBC40C00 8000000B
	ds_read_b64_tr_b8 a[130:131], v12 offset:3072              // 0000000076E8: DBC40C00 8200000C
	ds_read_b64_tr_b8 a[132:133], v11 offset:21504             // 0000000076F0: DBC45400 8400000B
	ds_read_b64_tr_b8 a[134:135], v12 offset:21504             // 0000000076F8: DBC45400 8600000C
	v_mov_b32_e32 v36, v21                                     // 000000007700: 7E480315
	v_mov_b32_e32 v37, v21                                     // 000000007704: 7E4A0315
	v_pk_mul_f32 v[76:77], v[36:37], v[76:77]                  // 000000007708: D3B1404C 18029924
	v_pk_mul_f32 v[78:79], v[36:37], v[78:79]                  // 000000007710: D3B1404E 18029D24
	v_pk_mul_f32 v[80:81], v[36:37], v[80:81]                  // 000000007718: D3B14050 1802A124
	v_pk_mul_f32 v[82:83], v[36:37], v[82:83]                  // 000000007720: D3B14052 1802A524
	v_pk_mul_f32 v[84:85], v[36:37], v[84:85]                  // 000000007728: D3B14054 1802A924
	v_pk_mul_f32 v[86:87], v[36:37], v[86:87]                  // 000000007730: D3B14056 1802AD24
	v_pk_mul_f32 v[88:89], v[36:37], v[88:89]                  // 000000007738: D3B14058 1802B124
	v_pk_mul_f32 v[90:91], v[36:37], v[90:91]                  // 000000007740: D3B1405A 1802B524
	v_pk_mul_f32 v[92:93], v[36:37], v[92:93]                  // 000000007748: D3B1405C 1802B924
	v_pk_mul_f32 v[94:95], v[36:37], v[94:95]                  // 000000007750: D3B1405E 1802BD24
	v_pk_mul_f32 v[96:97], v[36:37], v[96:97]                  // 000000007758: D3B14060 1802C124
	v_pk_mul_f32 v[98:99], v[36:37], v[98:99]                  // 000000007760: D3B14062 1802C524
	v_pk_mul_f32 v[100:101], v[36:37], v[100:101]              // 000000007768: D3B14064 1802C924
	v_pk_mul_f32 v[102:103], v[36:37], v[102:103]              // 000000007770: D3B14066 1802CD24
	v_pk_mul_f32 v[104:105], v[36:37], v[104:105]              // 000000007778: D3B14068 1802D124
	v_pk_mul_f32 v[106:107], v[36:37], v[106:107]              // 000000007780: D3B1406A 1802D524
	v_pk_mul_f32 v[108:109], v[36:37], v[108:109]              // 000000007788: D3B1406C 1802D924
	v_pk_mul_f32 v[110:111], v[36:37], v[110:111]              // 000000007790: D3B1406E 1802DD24
	v_pk_mul_f32 v[112:113], v[36:37], v[112:113]              // 000000007798: D3B14070 1802E124
	v_pk_mul_f32 v[114:115], v[36:37], v[114:115]              // 0000000077A0: D3B14072 1802E524
	v_pk_mul_f32 v[116:117], v[36:37], v[116:117]              // 0000000077A8: D3B14074 1802E924
	v_pk_mul_f32 v[118:119], v[36:37], v[118:119]              // 0000000077B0: D3B14076 1802ED24
	v_pk_mul_f32 v[120:121], v[36:37], v[120:121]              // 0000000077B8: D3B14078 1802F124
	v_pk_mul_f32 v[122:123], v[36:37], v[122:123]              // 0000000077C0: D3B1407A 1802F524
	v_pk_mul_f32 v[124:125], v[36:37], v[124:125]              // 0000000077C8: D3B1407C 1802F924
	v_pk_mul_f32 v[126:127], v[36:37], v[126:127]              // 0000000077D0: D3B1407E 1802FD24
	v_pk_mul_f32 v[128:129], v[36:37], v[128:129]              // 0000000077D8: D3B14080 18030124
	v_pk_mul_f32 v[130:131], v[36:37], v[130:131]              // 0000000077E0: D3B14082 18030524
	v_pk_mul_f32 v[132:133], v[36:37], v[132:133]              // 0000000077E8: D3B14084 18030924
	v_pk_mul_f32 v[134:135], v[36:37], v[134:135]              // 0000000077F0: D3B14086 18030D24
	v_pk_mul_f32 v[136:137], v[36:37], v[136:137]              // 0000000077F8: D3B14088 18031124
	v_pk_mul_f32 v[138:139], v[36:37], v[138:139]              // 000000007800: D3B1408A 18031524
	v_pk_mul_f32 v[140:141], v[36:37], v[140:141]              // 000000007808: D3B1408C 18031924
	v_pk_mul_f32 v[142:143], v[36:37], v[142:143]              // 000000007810: D3B1408E 18031D24
	v_pk_mul_f32 v[144:145], v[36:37], v[144:145]              // 000000007818: D3B14090 18032124
	v_pk_mul_f32 v[146:147], v[36:37], v[146:147]              // 000000007820: D3B14092 18032524
	v_pk_mul_f32 v[148:149], v[36:37], v[148:149]              // 000000007828: D3B14094 18032924
	v_pk_mul_f32 v[150:151], v[36:37], v[150:151]              // 000000007830: D3B14096 18032D24
	v_pk_mul_f32 v[152:153], v[36:37], v[152:153]              // 000000007838: D3B14098 18033124
	v_pk_mul_f32 v[154:155], v[36:37], v[154:155]              // 000000007840: D3B1409A 18033524
	v_pk_mul_f32 v[156:157], v[36:37], v[156:157]              // 000000007848: D3B1409C 18033924
	v_pk_mul_f32 v[158:159], v[36:37], v[158:159]              // 000000007850: D3B1409E 18033D24
	v_pk_mul_f32 v[160:161], v[36:37], v[160:161]              // 000000007858: D3B140A0 18034124
	v_pk_mul_f32 v[162:163], v[36:37], v[162:163]              // 000000007860: D3B140A2 18034524
	v_pk_mul_f32 v[164:165], v[36:37], v[164:165]              // 000000007868: D3B140A4 18034924
	v_pk_mul_f32 v[166:167], v[36:37], v[166:167]              // 000000007870: D3B140A6 18034D24
	v_pk_mul_f32 v[168:169], v[36:37], v[168:169]              // 000000007878: D3B140A8 18035124
	v_pk_mul_f32 v[170:171], v[36:37], v[170:171]              // 000000007880: D3B140AA 18035524
	v_pk_mul_f32 v[172:173], v[36:37], v[172:173]              // 000000007888: D3B140AC 18035924
	v_pk_mul_f32 v[174:175], v[36:37], v[174:175]              // 000000007890: D3B140AE 18035D24
	v_pk_mul_f32 v[176:177], v[36:37], v[176:177]              // 000000007898: D3B140B0 18036124
	v_pk_mul_f32 v[178:179], v[36:37], v[178:179]              // 0000000078A0: D3B140B2 18036524
	v_pk_mul_f32 v[180:181], v[36:37], v[180:181]              // 0000000078A8: D3B140B4 18036924
	v_pk_mul_f32 v[182:183], v[36:37], v[182:183]              // 0000000078B0: D3B140B6 18036D24
	v_pk_mul_f32 v[184:185], v[36:37], v[184:185]              // 0000000078B8: D3B140B8 18037124
	v_pk_mul_f32 v[186:187], v[36:37], v[186:187]              // 0000000078C0: D3B140BA 18037524
	v_pk_mul_f32 v[188:189], v[36:37], v[188:189]              // 0000000078C8: D3B140BC 18037924
	v_pk_mul_f32 v[190:191], v[36:37], v[190:191]              // 0000000078D0: D3B140BE 18037D24
	v_pk_mul_f32 v[192:193], v[36:37], v[192:193]              // 0000000078D8: D3B140C0 18038124
	v_pk_mul_f32 v[194:195], v[36:37], v[194:195]              // 0000000078E0: D3B140C2 18038524
	v_pk_mul_f32 v[196:197], v[36:37], v[196:197]              // 0000000078E8: D3B140C4 18038924
	v_pk_mul_f32 v[198:199], v[36:37], v[198:199]              // 0000000078F0: D3B140C6 18038D24
	v_pk_mul_f32 v[200:201], v[36:37], v[200:201]              // 0000000078F8: D3B140C8 18039124
	v_pk_mul_f32 v[202:203], v[36:37], v[202:203]              // 000000007900: D3B140CA 18039524
	s_waitcnt vmcnt(0)                                         // 000000007908: BF8C0F70
	s_barrier                                                  // 00000000790C: BF8A0000
	v_mfma_f32_32x32x64_f8f6f4 v[76:91], a[72:79], v[44:51], v[76:91]// 000000007910: D3AE004C 0D325948
	ds_read_b128 a[72:75], v26                                 // 000000007918: DBFE0000 4800001A
	ds_read_b128 a[76:79], v27                                 // 000000007920: DBFE0000 4C00001B
	v_mfma_f32_32x32x64_f8f6f4 v[92:107], a[80:87], v[44:51], v[92:107]// 000000007928: D3AE005C 0D725950
	ds_read_b128 a[80:83], v26 offset:1024                     // 000000007930: DBFE0400 5000001A
	ds_read_b128 a[84:87], v27 offset:1024                     // 000000007938: DBFE0400 5400001B
	v_mfma_f32_32x32x64_f8f6f4 v[108:123], a[88:95], v[44:51], v[108:123]// 000000007940: D3AE006C 0DB25958
	ds_read_b128 a[88:91], v26 offset:2048                     // 000000007948: DBFE0800 5800001A
	ds_read_b128 a[92:95], v27 offset:2048                     // 000000007950: DBFE0800 5C00001B
	v_mfma_f32_32x32x64_f8f6f4 v[124:139], a[96:103], v[44:51], v[124:139]// 000000007958: D3AE007C 0DF25960
	ds_read_b128 a[96:99], v26 offset:3072                     // 000000007960: DBFE0C00 6000001A
	ds_read_b128 a[100:103], v27 offset:3072                   // 000000007968: DBFE0C00 6400001B
	v_mfma_f32_32x32x64_f8f6f4 v[140:155], a[104:111], v[44:51], v[140:155]// 000000007970: D3AE008C 0E325968
	ds_read_b128 a[104:107], v26 offset:4096                   // 000000007978: DBFE1000 6800001A
	ds_read_b128 a[108:111], v27 offset:4096                   // 000000007980: DBFE1000 6C00001B
	v_mfma_f32_32x32x64_f8f6f4 v[156:171], a[112:119], v[44:51], v[156:171]// 000000007988: D3AE009C 0E725970
	ds_read_b128 a[112:115], v26 offset:5120                   // 000000007990: DBFE1400 7000001A
	ds_read_b128 a[116:119], v27 offset:5120                   // 000000007998: DBFE1400 7400001B
	v_mfma_f32_32x32x64_f8f6f4 v[172:187], a[120:127], v[44:51], v[172:187]// 0000000079A0: D3AE00AC 0EB25978
	ds_read_b128 a[120:123], v26 offset:6144                   // 0000000079A8: DBFE1800 7800001A
	ds_read_b128 a[124:127], v27 offset:6144                   // 0000000079B0: DBFE1800 7C00001B
	v_mfma_f32_32x32x64_f8f6f4 v[188:203], a[128:135], v[44:51], v[188:203]// 0000000079B8: D3AE00BC 0EF25980
	ds_read_b128 a[128:131], v26 offset:7168                   // 0000000079C0: DBFE1C00 8000001A
	ds_read_b128 a[132:135], v27 offset:7168                   // 0000000079C8: DBFE1C00 8400001B
	ds_read_b128 a[136:139], v26 offset:8192                   // 0000000079D0: DBFE2000 8800001A
	ds_read_b128 a[140:143], v27 offset:8192                   // 0000000079D8: DBFE2000 8C00001B
	s_branch label_6C34                                        // 0000000079E0: BF820594

00000000000079e4 <label_55E4>:
	s_nop 2                                                    // 0000000079E4: BF800002
	v_mov_b32_e32 v213, v60                                    // 0000000079E8: 7FAA033C
	v_max3_f32 v213, v60, v61, v213                            // 0000000079EC: D1D300D5 07567B3C
	v_max3_f32 v213, v62, v63, v213                            // 0000000079F4: D1D300D5 07567F3E
	v_max3_f32 v213, v64, v65, v213                            // 0000000079FC: D1D300D5 07568340
	v_max3_f32 v213, v66, v67, v213                            // 000000007A04: D1D300D5 07568742
	v_max3_f32 v213, v68, v69, v213                            // 000000007A0C: D1D300D5 07568B44
	v_max3_f32 v213, v70, v71, v213                            // 000000007A14: D1D300D5 07568F46
	v_max3_f32 v213, v72, v73, v213                            // 000000007A1C: D1D300D5 07569348
	v_max3_f32 v213, v74, v75, v213                            // 000000007A24: D1D300D5 0756974A
	v_mov_b32_e32 v35, v213                                    // 000000007A2C: 7E4603D5
	v_mov_b32_e32 v36, v213                                    // 000000007A30: 7E4803D5
	s_nop 1                                                    // 000000007A34: BF800001
	v_permlane32_swap_b32_e32 v35, v36                         // 000000007A38: 7E46B524
	v_max3_f32 v213, v35, v36, v213                            // 000000007A3C: D1D300D5 07564923
	ds_write_b32 v41, v213                                     // 000000007A44: D81A0000 0000D529
	s_waitcnt lgkmcnt(0)                                       // 000000007A4C: BF8CC07F
	s_barrier                                                  // 000000007A50: BF8A0000
	ds_read_b32 v35, v40                                       // 000000007A54: D86C0000 23000028
	ds_read_b32 v36, v40 offset:256                            // 000000007A5C: D86C0100 24000028
	s_waitcnt lgkmcnt(0)                                       // 000000007A64: BF8CC07F
	v_max3_f32 v213, v35, v36, v213                            // 000000007A68: D1D300D5 07564923
	v_mov_b32_e32 v35, 0xff800000                              // 000000007A70: 7E4602FF FF800000
	v_cmp_eq_u32_e64 s[36:37], v35, v2                         // 000000007A78: D0CA0024 00020523
	v_max_f32_e32 v216, v213, v2                               // 000000007A80: 17B005D5
	v_sub_f32_e32 v21, v2, v216                                // 000000007A84: 042BB102
	v_cndmask_b32_e64 v21, v21, 0, s[36:37]                    // 000000007A88: D1000015 00910115
	v_mov_b32_e32 v2, v216                                     // 000000007A90: 7E0403D8
	v_mul_f32_e32 v212, s5, v216                               // 000000007A94: 0BA9B005
	v_mul_f32_e32 v21, s5, v21                                 // 000000007A98: 0A2A2A05
	v_exp_f32_e32 v21, v21                                     // 000000007A9C: 7E2A4115
	v_fma_f32 v60, v60, s5, -v212                              // 000000007AA0: D1CB003C 87500B3C
	v_fma_f32 v61, v61, s5, -v212                              // 000000007AA8: D1CB003D 87500B3D
	v_fma_f32 v62, v62, s5, -v212                              // 000000007AB0: D1CB003E 87500B3E
	v_fma_f32 v63, v63, s5, -v212                              // 000000007AB8: D1CB003F 87500B3F
	v_fma_f32 v64, v64, s5, -v212                              // 000000007AC0: D1CB0040 87500B40
	v_fma_f32 v65, v65, s5, -v212                              // 000000007AC8: D1CB0041 87500B41
	v_fma_f32 v66, v66, s5, -v212                              // 000000007AD0: D1CB0042 87500B42
	v_fma_f32 v67, v67, s5, -v212                              // 000000007AD8: D1CB0043 87500B43
	v_fma_f32 v68, v68, s5, -v212                              // 000000007AE0: D1CB0044 87500B44
	v_fma_f32 v69, v69, s5, -v212                              // 000000007AE8: D1CB0045 87500B45
	v_fma_f32 v70, v70, s5, -v212                              // 000000007AF0: D1CB0046 87500B46
	v_fma_f32 v71, v71, s5, -v212                              // 000000007AF8: D1CB0047 87500B47
	v_fma_f32 v72, v72, s5, -v212                              // 000000007B00: D1CB0048 87500B48
	v_fma_f32 v73, v73, s5, -v212                              // 000000007B08: D1CB0049 87500B49
	v_fma_f32 v74, v74, s5, -v212                              // 000000007B10: D1CB004A 87500B4A
	v_fma_f32 v75, v75, s5, -v212                              // 000000007B18: D1CB004B 87500B4B
	v_mov_b32_e32 v35, 0xffc00000                              // 000000007B20: 7E4602FF FFC00000
	v_exp_f32_e32 v60, v60                                     // 000000007B28: 7E78413C
	v_exp_f32_e32 v61, v61                                     // 000000007B2C: 7E7A413D
	v_exp_f32_e32 v62, v62                                     // 000000007B30: 7E7C413E
	v_exp_f32_e32 v63, v63                                     // 000000007B34: 7E7E413F
	v_exp_f32_e32 v64, v64                                     // 000000007B38: 7E804140
	v_exp_f32_e32 v65, v65                                     // 000000007B3C: 7E824141
	v_exp_f32_e32 v66, v66                                     // 000000007B40: 7E844142
	v_exp_f32_e32 v67, v67                                     // 000000007B44: 7E864143
	v_exp_f32_e32 v68, v68                                     // 000000007B48: 7E884144
	v_exp_f32_e32 v69, v69                                     // 000000007B4C: 7E8A4145
	v_exp_f32_e32 v70, v70                                     // 000000007B50: 7E8C4146
	v_exp_f32_e32 v71, v71                                     // 000000007B54: 7E8E4147
	v_exp_f32_e32 v72, v72                                     // 000000007B58: 7E904148
	v_exp_f32_e32 v73, v73                                     // 000000007B5C: 7E924149
	v_exp_f32_e32 v74, v74                                     // 000000007B60: 7E94414A
	v_exp_f32_e32 v75, v75                                     // 000000007B64: 7E96414B
	v_mul_f32_e32 v4, v21, v4                                  // 000000007B68: 0A080915
	v_mov_b32_e32 v35, v60                                     // 000000007B6C: 7E46033C
	v_add_f32_e32 v35, v61, v35                                // 000000007B70: 0246473D
	v_add_f32_e32 v35, v62, v35                                // 000000007B74: 0246473E
	v_add_f32_e32 v35, v63, v35                                // 000000007B78: 0246473F
	v_add_f32_e32 v35, v64, v35                                // 000000007B7C: 02464740
	v_add_f32_e32 v35, v65, v35                                // 000000007B80: 02464741
	v_add_f32_e32 v35, v66, v35                                // 000000007B84: 02464742
	v_add_f32_e32 v35, v67, v35                                // 000000007B88: 02464743
	v_add_f32_e32 v35, v68, v35                                // 000000007B8C: 02464744
	v_add_f32_e32 v35, v69, v35                                // 000000007B90: 02464745
	v_add_f32_e32 v35, v70, v35                                // 000000007B94: 02464746
	v_add_f32_e32 v35, v71, v35                                // 000000007B98: 02464747
	v_add_f32_e32 v35, v72, v35                                // 000000007B9C: 02464748
	v_add_f32_e32 v35, v73, v35                                // 000000007BA0: 02464749
	v_add_f32_e32 v35, v74, v35                                // 000000007BA4: 0246474A
	v_add_f32_e32 v35, v75, v35                                // 000000007BA8: 0246474B
	v_add_f32_e32 v4, v35, v4                                  // 000000007BAC: 02080923
	v_cvt_pk_fp8_f32 v60, v60, v61                             // 000000007BB0: D2A2003C 00027B3C
	v_cvt_pk_fp8_f32 v60, v62, v63 op_sel:[0,0,1]              // 000000007BB8: D2A2403C 00027F3E
	v_cvt_pk_fp8_f32 v61, v64, v65                             // 000000007BC0: D2A2003D 00028340
	v_cvt_pk_fp8_f32 v61, v66, v67 op_sel:[0,0,1]              // 000000007BC8: D2A2403D 00028742
	v_cvt_pk_fp8_f32 v62, v68, v69                             // 000000007BD0: D2A2003E 00028B44
	v_cvt_pk_fp8_f32 v62, v70, v71 op_sel:[0,0,1]              // 000000007BD8: D2A2403E 00028F46
	v_cvt_pk_fp8_f32 v63, v72, v73                             // 000000007BE0: D2A2003F 00029348
	v_cvt_pk_fp8_f32 v63, v74, v75 op_sel:[0,0,1]              // 000000007BE8: D2A2403F 0002974A
	ds_write_b128 v43, v[60:63] offset:1024                    // 000000007BF0: D9BE0400 00003C2B
	s_waitcnt lgkmcnt(0)                                       // 000000007BF8: BF8CC07F
	s_barrier                                                  // 000000007BFC: BF8A0000
	ds_read_b128 v[60:63], v42 offset:1024                     // 000000007C00: D9FE0400 3C00002A
	ds_read_b128 v[64:67], v42 offset:2048                     // 000000007C08: D9FE0800 4000002A
	s_waitcnt lgkmcnt(0)                                       // 000000007C10: BF8CC07F
	v_permlane32_swap_b32_e32 v60, v62                         // 000000007C14: 7E78B53E
	v_permlane32_swap_b32_e32 v61, v63                         // 000000007C18: 7E7AB53F
	v_swap_b32 v61, v62                                        // 000000007C1C: 7E7AA33E
	v_permlane32_swap_b32_e32 v64, v66                         // 000000007C20: 7E80B542
	v_permlane32_swap_b32_e32 v65, v67                         // 000000007C24: 7E82B543
	v_swap_b32 v65, v66                                        // 000000007C28: 7E82A342
	ds_read_b64_tr_b8 a[72:73], v9                             // 000000007C2C: DBC40000 48000009
	ds_read_b64_tr_b8 a[74:75], v10                            // 000000007C34: DBC40000 4A00000A
	ds_read_b64_tr_b8 a[76:77], v9 offset:18432                // 000000007C3C: DBC44800 4C000009
	ds_read_b64_tr_b8 a[78:79], v10 offset:18432               // 000000007C44: DBC44800 4E00000A
	ds_read_b64_tr_b8 a[80:81], v11                            // 000000007C4C: DBC40000 5000000B
	ds_read_b64_tr_b8 a[82:83], v12                            // 000000007C54: DBC40000 5200000C
	ds_read_b64_tr_b8 a[84:85], v11 offset:18432               // 000000007C5C: DBC44800 5400000B
	ds_read_b64_tr_b8 a[86:87], v12 offset:18432               // 000000007C64: DBC44800 5600000C
	ds_read_b64_tr_b8 a[88:89], v9 offset:1024                 // 000000007C6C: DBC40400 58000009
	ds_read_b64_tr_b8 a[90:91], v10 offset:1024                // 000000007C74: DBC40400 5A00000A
	ds_read_b64_tr_b8 a[92:93], v9 offset:19456                // 000000007C7C: DBC44C00 5C000009
	ds_read_b64_tr_b8 a[94:95], v10 offset:19456               // 000000007C84: DBC44C00 5E00000A
	ds_read_b64_tr_b8 a[96:97], v11 offset:1024                // 000000007C8C: DBC40400 6000000B
	ds_read_b64_tr_b8 a[98:99], v12 offset:1024                // 000000007C94: DBC40400 6200000C
	ds_read_b64_tr_b8 a[100:101], v11 offset:19456             // 000000007C9C: DBC44C00 6400000B
	ds_read_b64_tr_b8 a[102:103], v12 offset:19456             // 000000007CA4: DBC44C00 6600000C
	ds_read_b64_tr_b8 a[104:105], v9 offset:2048               // 000000007CAC: DBC40800 68000009
	ds_read_b64_tr_b8 a[106:107], v10 offset:2048              // 000000007CB4: DBC40800 6A00000A
	ds_read_b64_tr_b8 a[108:109], v9 offset:20480              // 000000007CBC: DBC45000 6C000009
	ds_read_b64_tr_b8 a[110:111], v10 offset:20480             // 000000007CC4: DBC45000 6E00000A
	ds_read_b64_tr_b8 a[112:113], v11 offset:2048              // 000000007CCC: DBC40800 7000000B
	ds_read_b64_tr_b8 a[114:115], v12 offset:2048              // 000000007CD4: DBC40800 7200000C
	ds_read_b64_tr_b8 a[116:117], v11 offset:20480             // 000000007CDC: DBC45000 7400000B
	ds_read_b64_tr_b8 a[118:119], v12 offset:20480             // 000000007CE4: DBC45000 7600000C
	ds_read_b64_tr_b8 a[120:121], v9 offset:3072               // 000000007CEC: DBC40C00 78000009
	ds_read_b64_tr_b8 a[122:123], v10 offset:3072              // 000000007CF4: DBC40C00 7A00000A
	ds_read_b64_tr_b8 a[124:125], v9 offset:21504              // 000000007CFC: DBC45400 7C000009
	ds_read_b64_tr_b8 a[126:127], v10 offset:21504             // 000000007D04: DBC45400 7E00000A
	ds_read_b64_tr_b8 a[128:129], v11 offset:3072              // 000000007D0C: DBC40C00 8000000B
	ds_read_b64_tr_b8 a[130:131], v12 offset:3072              // 000000007D14: DBC40C00 8200000C
	ds_read_b64_tr_b8 a[132:133], v11 offset:21504             // 000000007D1C: DBC45400 8400000B
	ds_read_b64_tr_b8 a[134:135], v12 offset:21504             // 000000007D24: DBC45400 8600000C
	s_waitcnt lgkmcnt(4)                                       // 000000007D2C: BF8CC47F
	v_mfma_f32_32x32x64_f8f6f4 v[76:91], a[72:79], v[44:51], v[76:91]// 000000007D30: D3AE004C 0D325948
	ds_read_b64_tr_b8 a[72:73], v13                            // 000000007D38: DBC40000 4800000D
	ds_read_b64_tr_b8 a[74:75], v14                            // 000000007D40: DBC40000 4A00000E
	ds_read_b64_tr_b8 a[76:77], v13 offset:18432               // 000000007D48: DBC44800 4C00000D
	ds_read_b64_tr_b8 a[78:79], v14 offset:18432               // 000000007D50: DBC44800 4E00000E
	v_mfma_f32_32x32x64_f8f6f4 v[92:107], a[80:87], v[44:51], v[92:107]// 000000007D58: D3AE005C 0D725950
	ds_read_b64_tr_b8 a[80:81], v15                            // 000000007D60: DBC40000 5000000F
	ds_read_b64_tr_b8 a[82:83], v16                            // 000000007D68: DBC40000 52000010
	ds_read_b64_tr_b8 a[84:85], v15 offset:18432               // 000000007D70: DBC44800 5400000F
	ds_read_b64_tr_b8 a[86:87], v16 offset:18432               // 000000007D78: DBC44800 56000010
	v_mfma_f32_32x32x64_f8f6f4 v[108:123], a[88:95], v[44:51], v[108:123]// 000000007D80: D3AE006C 0DB25958
	ds_read_b64_tr_b8 a[88:89], v13 offset:1024                // 000000007D88: DBC40400 5800000D
	ds_read_b64_tr_b8 a[90:91], v14 offset:1024                // 000000007D90: DBC40400 5A00000E
	ds_read_b64_tr_b8 a[92:93], v13 offset:19456               // 000000007D98: DBC44C00 5C00000D
	ds_read_b64_tr_b8 a[94:95], v14 offset:19456               // 000000007DA0: DBC44C00 5E00000E
	v_mfma_f32_32x32x64_f8f6f4 v[124:139], a[96:103], v[44:51], v[124:139]// 000000007DA8: D3AE007C 0DF25960
	ds_read_b64_tr_b8 a[96:97], v15 offset:1024                // 000000007DB0: DBC40400 6000000F
	ds_read_b64_tr_b8 a[98:99], v16 offset:1024                // 000000007DB8: DBC40400 62000010
	ds_read_b64_tr_b8 a[100:101], v15 offset:19456             // 000000007DC0: DBC44C00 6400000F
	ds_read_b64_tr_b8 a[102:103], v16 offset:19456             // 000000007DC8: DBC44C00 66000010
	v_mfma_f32_32x32x64_f8f6f4 v[140:155], a[104:111], v[44:51], v[140:155]// 000000007DD0: D3AE008C 0E325968
	ds_read_b64_tr_b8 a[104:105], v13 offset:2048              // 000000007DD8: DBC40800 6800000D
	ds_read_b64_tr_b8 a[106:107], v14 offset:2048              // 000000007DE0: DBC40800 6A00000E
	ds_read_b64_tr_b8 a[108:109], v13 offset:20480             // 000000007DE8: DBC45000 6C00000D
	ds_read_b64_tr_b8 a[110:111], v14 offset:20480             // 000000007DF0: DBC45000 6E00000E
	v_mfma_f32_32x32x64_f8f6f4 v[156:171], a[112:119], v[44:51], v[156:171]// 000000007DF8: D3AE009C 0E725970
	ds_read_b64_tr_b8 a[112:113], v15 offset:2048              // 000000007E00: DBC40800 7000000F
	ds_read_b64_tr_b8 a[114:115], v16 offset:2048              // 000000007E08: DBC40800 72000010
	ds_read_b64_tr_b8 a[116:117], v15 offset:20480             // 000000007E10: DBC45000 7400000F
	ds_read_b64_tr_b8 a[118:119], v16 offset:20480             // 000000007E18: DBC45000 76000010
	v_mfma_f32_32x32x64_f8f6f4 v[172:187], a[120:127], v[44:51], v[172:187]// 000000007E20: D3AE00AC 0EB25978
	ds_read_b64_tr_b8 a[120:121], v13 offset:3072              // 000000007E28: DBC40C00 7800000D
	ds_read_b64_tr_b8 a[122:123], v14 offset:3072              // 000000007E30: DBC40C00 7A00000E
	ds_read_b64_tr_b8 a[124:125], v13 offset:21504             // 000000007E38: DBC45400 7C00000D
	ds_read_b64_tr_b8 a[126:127], v14 offset:21504             // 000000007E40: DBC45400 7E00000E
	v_mfma_f32_32x32x64_f8f6f4 v[188:203], a[128:135], v[44:51], v[188:203]// 000000007E48: D3AE00BC 0EF25980
	ds_read_b64_tr_b8 a[128:129], v15 offset:3072              // 000000007E50: DBC40C00 8000000F
	ds_read_b64_tr_b8 a[130:131], v16 offset:3072              // 000000007E58: DBC40C00 82000010
	ds_read_b64_tr_b8 a[132:133], v15 offset:21504             // 000000007E60: DBC45400 8400000F
	ds_read_b64_tr_b8 a[134:135], v16 offset:21504             // 000000007E68: DBC45400 86000010
	v_mov_b32_e32 v36, v21                                     // 000000007E70: 7E480315
	v_mov_b32_e32 v37, v21                                     // 000000007E74: 7E4A0315
	v_pk_mul_f32 v[76:77], v[36:37], v[76:77]                  // 000000007E78: D3B1404C 18029924
	v_pk_mul_f32 v[78:79], v[36:37], v[78:79]                  // 000000007E80: D3B1404E 18029D24
	v_pk_mul_f32 v[80:81], v[36:37], v[80:81]                  // 000000007E88: D3B14050 1802A124
	v_pk_mul_f32 v[82:83], v[36:37], v[82:83]                  // 000000007E90: D3B14052 1802A524
	v_pk_mul_f32 v[84:85], v[36:37], v[84:85]                  // 000000007E98: D3B14054 1802A924
	v_pk_mul_f32 v[86:87], v[36:37], v[86:87]                  // 000000007EA0: D3B14056 1802AD24
	v_pk_mul_f32 v[88:89], v[36:37], v[88:89]                  // 000000007EA8: D3B14058 1802B124
	v_pk_mul_f32 v[90:91], v[36:37], v[90:91]                  // 000000007EB0: D3B1405A 1802B524
	v_pk_mul_f32 v[92:93], v[36:37], v[92:93]                  // 000000007EB8: D3B1405C 1802B924
	v_pk_mul_f32 v[94:95], v[36:37], v[94:95]                  // 000000007EC0: D3B1405E 1802BD24
	v_pk_mul_f32 v[96:97], v[36:37], v[96:97]                  // 000000007EC8: D3B14060 1802C124
	v_pk_mul_f32 v[98:99], v[36:37], v[98:99]                  // 000000007ED0: D3B14062 1802C524
	v_pk_mul_f32 v[100:101], v[36:37], v[100:101]              // 000000007ED8: D3B14064 1802C924
	v_pk_mul_f32 v[102:103], v[36:37], v[102:103]              // 000000007EE0: D3B14066 1802CD24
	v_pk_mul_f32 v[104:105], v[36:37], v[104:105]              // 000000007EE8: D3B14068 1802D124
	v_pk_mul_f32 v[106:107], v[36:37], v[106:107]              // 000000007EF0: D3B1406A 1802D524
	v_pk_mul_f32 v[108:109], v[36:37], v[108:109]              // 000000007EF8: D3B1406C 1802D924
	v_pk_mul_f32 v[110:111], v[36:37], v[110:111]              // 000000007F00: D3B1406E 1802DD24
	v_pk_mul_f32 v[112:113], v[36:37], v[112:113]              // 000000007F08: D3B14070 1802E124
	v_pk_mul_f32 v[114:115], v[36:37], v[114:115]              // 000000007F10: D3B14072 1802E524
	v_pk_mul_f32 v[116:117], v[36:37], v[116:117]              // 000000007F18: D3B14074 1802E924
	v_pk_mul_f32 v[118:119], v[36:37], v[118:119]              // 000000007F20: D3B14076 1802ED24
	v_pk_mul_f32 v[120:121], v[36:37], v[120:121]              // 000000007F28: D3B14078 1802F124
	v_pk_mul_f32 v[122:123], v[36:37], v[122:123]              // 000000007F30: D3B1407A 1802F524
	v_pk_mul_f32 v[124:125], v[36:37], v[124:125]              // 000000007F38: D3B1407C 1802F924
	v_pk_mul_f32 v[126:127], v[36:37], v[126:127]              // 000000007F40: D3B1407E 1802FD24
	v_pk_mul_f32 v[128:129], v[36:37], v[128:129]              // 000000007F48: D3B14080 18030124
	v_pk_mul_f32 v[130:131], v[36:37], v[130:131]              // 000000007F50: D3B14082 18030524
	v_pk_mul_f32 v[132:133], v[36:37], v[132:133]              // 000000007F58: D3B14084 18030924
	v_pk_mul_f32 v[134:135], v[36:37], v[134:135]              // 000000007F60: D3B14086 18030D24
	v_pk_mul_f32 v[136:137], v[36:37], v[136:137]              // 000000007F68: D3B14088 18031124
	v_pk_mul_f32 v[138:139], v[36:37], v[138:139]              // 000000007F70: D3B1408A 18031524
	v_pk_mul_f32 v[140:141], v[36:37], v[140:141]              // 000000007F78: D3B1408C 18031924
	v_pk_mul_f32 v[142:143], v[36:37], v[142:143]              // 000000007F80: D3B1408E 18031D24
	v_pk_mul_f32 v[144:145], v[36:37], v[144:145]              // 000000007F88: D3B14090 18032124
	v_pk_mul_f32 v[146:147], v[36:37], v[146:147]              // 000000007F90: D3B14092 18032524
	v_pk_mul_f32 v[148:149], v[36:37], v[148:149]              // 000000007F98: D3B14094 18032924
	v_pk_mul_f32 v[150:151], v[36:37], v[150:151]              // 000000007FA0: D3B14096 18032D24
	v_pk_mul_f32 v[152:153], v[36:37], v[152:153]              // 000000007FA8: D3B14098 18033124
	v_pk_mul_f32 v[154:155], v[36:37], v[154:155]              // 000000007FB0: D3B1409A 18033524
	v_pk_mul_f32 v[156:157], v[36:37], v[156:157]              // 000000007FB8: D3B1409C 18033924
	v_pk_mul_f32 v[158:159], v[36:37], v[158:159]              // 000000007FC0: D3B1409E 18033D24
	v_pk_mul_f32 v[160:161], v[36:37], v[160:161]              // 000000007FC8: D3B140A0 18034124
	v_pk_mul_f32 v[162:163], v[36:37], v[162:163]              // 000000007FD0: D3B140A2 18034524
	v_pk_mul_f32 v[164:165], v[36:37], v[164:165]              // 000000007FD8: D3B140A4 18034924
	v_pk_mul_f32 v[166:167], v[36:37], v[166:167]              // 000000007FE0: D3B140A6 18034D24
	v_pk_mul_f32 v[168:169], v[36:37], v[168:169]              // 000000007FE8: D3B140A8 18035124
	v_pk_mul_f32 v[170:171], v[36:37], v[170:171]              // 000000007FF0: D3B140AA 18035524
	v_pk_mul_f32 v[172:173], v[36:37], v[172:173]              // 000000007FF8: D3B140AC 18035924
	v_pk_mul_f32 v[174:175], v[36:37], v[174:175]              // 000000008000: D3B140AE 18035D24
	v_pk_mul_f32 v[176:177], v[36:37], v[176:177]              // 000000008008: D3B140B0 18036124
	v_pk_mul_f32 v[178:179], v[36:37], v[178:179]              // 000000008010: D3B140B2 18036524
	v_pk_mul_f32 v[180:181], v[36:37], v[180:181]              // 000000008018: D3B140B4 18036924
	v_pk_mul_f32 v[182:183], v[36:37], v[182:183]              // 000000008020: D3B140B6 18036D24
	v_pk_mul_f32 v[184:185], v[36:37], v[184:185]              // 000000008028: D3B140B8 18037124
	v_pk_mul_f32 v[186:187], v[36:37], v[186:187]              // 000000008030: D3B140BA 18037524
	v_pk_mul_f32 v[188:189], v[36:37], v[188:189]              // 000000008038: D3B140BC 18037924
	v_pk_mul_f32 v[190:191], v[36:37], v[190:191]              // 000000008040: D3B140BE 18037D24
	v_pk_mul_f32 v[192:193], v[36:37], v[192:193]              // 000000008048: D3B140C0 18038124
	v_pk_mul_f32 v[194:195], v[36:37], v[194:195]              // 000000008050: D3B140C2 18038524
	v_pk_mul_f32 v[196:197], v[36:37], v[196:197]              // 000000008058: D3B140C4 18038924
	v_pk_mul_f32 v[198:199], v[36:37], v[198:199]              // 000000008060: D3B140C6 18038D24
	v_pk_mul_f32 v[200:201], v[36:37], v[200:201]              // 000000008068: D3B140C8 18039124
	v_pk_mul_f32 v[202:203], v[36:37], v[202:203]              // 000000008070: D3B140CA 18039524
	s_waitcnt vmcnt(0)                                         // 000000008078: BF8C0F70
	s_barrier                                                  // 00000000807C: BF8A0000
	v_mfma_f32_32x32x64_f8f6f4 v[76:91], a[72:79], v[60:67], v[76:91]// 000000008080: D3AE004C 0D327948
	ds_read_b128 a[72:75], v28                                 // 000000008088: DBFE0000 4800001C
	ds_read_b128 a[76:79], v29                                 // 000000008090: DBFE0000 4C00001D
	v_mfma_f32_32x32x64_f8f6f4 v[92:107], a[80:87], v[60:67], v[92:107]// 000000008098: D3AE005C 0D727950
	ds_read_b128 a[80:83], v28 offset:1024                     // 0000000080A0: DBFE0400 5000001C
	ds_read_b128 a[84:87], v29 offset:1024                     // 0000000080A8: DBFE0400 5400001D
	v_mfma_f32_32x32x64_f8f6f4 v[108:123], a[88:95], v[60:67], v[108:123]// 0000000080B0: D3AE006C 0DB27958
	ds_read_b128 a[88:91], v28 offset:2048                     // 0000000080B8: DBFE0800 5800001C
	ds_read_b128 a[92:95], v29 offset:2048                     // 0000000080C0: DBFE0800 5C00001D
	v_mfma_f32_32x32x64_f8f6f4 v[124:139], a[96:103], v[60:67], v[124:139]// 0000000080C8: D3AE007C 0DF27960
	ds_read_b128 a[96:99], v28 offset:3072                     // 0000000080D0: DBFE0C00 6000001C
	ds_read_b128 a[100:103], v29 offset:3072                   // 0000000080D8: DBFE0C00 6400001D
	v_mfma_f32_32x32x64_f8f6f4 v[140:155], a[104:111], v[60:67], v[140:155]// 0000000080E0: D3AE008C 0E327968
	ds_read_b128 a[104:107], v28 offset:4096                   // 0000000080E8: DBFE1000 6800001C
	ds_read_b128 a[108:111], v29 offset:4096                   // 0000000080F0: DBFE1000 6C00001D
	v_mfma_f32_32x32x64_f8f6f4 v[156:171], a[112:119], v[60:67], v[156:171]// 0000000080F8: D3AE009C 0E727970
	ds_read_b128 a[112:115], v28 offset:5120                   // 000000008100: DBFE1400 7000001C
	ds_read_b128 a[116:119], v29 offset:5120                   // 000000008108: DBFE1400 7400001D
	v_mfma_f32_32x32x64_f8f6f4 v[172:187], a[120:127], v[60:67], v[172:187]// 000000008110: D3AE00AC 0EB27978
	ds_read_b128 a[120:123], v28 offset:6144                   // 000000008118: DBFE1800 7800001C
	ds_read_b128 a[124:127], v29 offset:6144                   // 000000008120: DBFE1800 7C00001D
	v_mfma_f32_32x32x64_f8f6f4 v[188:203], a[128:135], v[60:67], v[188:203]// 000000008128: D3AE00BC 0EF27980
	ds_read_b128 a[128:131], v28 offset:7168                   // 000000008130: DBFE1C00 8000001C
	ds_read_b128 a[132:135], v29 offset:7168                   // 000000008138: DBFE1C00 8400001D
	ds_read_b128 a[136:139], v28 offset:8192                   // 000000008140: DBFE2000 8800001C
	ds_read_b128 a[140:143], v29 offset:8192                   // 000000008148: DBFE2000 8C00001D
	s_branch label_6C34                                        // 000000008150: BF8203B8

0000000000008154 <label_5D54>:
	s_nop 2                                                    // 000000008154: BF800002
	v_mov_b32_e32 v213, v44                                    // 000000008158: 7FAA032C
	v_max3_f32 v213, v44, v45, v213                            // 00000000815C: D1D300D5 07565B2C
	v_max3_f32 v213, v46, v47, v213                            // 000000008164: D1D300D5 07565F2E
	v_max3_f32 v213, v48, v49, v213                            // 00000000816C: D1D300D5 07566330
	v_max3_f32 v213, v50, v51, v213                            // 000000008174: D1D300D5 07566732
	v_max3_f32 v213, v52, v53, v213                            // 00000000817C: D1D300D5 07566B34
	v_max3_f32 v213, v54, v55, v213                            // 000000008184: D1D300D5 07566F36
	v_max3_f32 v213, v56, v57, v213                            // 00000000818C: D1D300D5 07567338
	v_max3_f32 v213, v58, v59, v213                            // 000000008194: D1D300D5 0756773A
	v_mov_b32_e32 v35, v213                                    // 00000000819C: 7E4603D5
	v_mov_b32_e32 v36, v213                                    // 0000000081A0: 7E4803D5
	s_nop 1                                                    // 0000000081A4: BF800001
	v_permlane32_swap_b32_e32 v35, v36                         // 0000000081A8: 7E46B524
	v_max3_f32 v213, v35, v36, v213                            // 0000000081AC: D1D300D5 07564923
	ds_write_b32 v41, v213                                     // 0000000081B4: D81A0000 0000D529
	s_waitcnt lgkmcnt(0)                                       // 0000000081BC: BF8CC07F
	s_barrier                                                  // 0000000081C0: BF8A0000
	ds_read_b32 v35, v40                                       // 0000000081C4: D86C0000 23000028
	ds_read_b32 v36, v40 offset:256                            // 0000000081CC: D86C0100 24000028
	s_waitcnt lgkmcnt(0)                                       // 0000000081D4: BF8CC07F
	v_max3_f32 v213, v35, v36, v213                            // 0000000081D8: D1D300D5 07564923
	v_mov_b32_e32 v35, 0xff800000                              // 0000000081E0: 7E4602FF FF800000
	v_cmp_eq_u32_e64 s[36:37], v35, v2                         // 0000000081E8: D0CA0024 00020523
	v_max_f32_e32 v216, v213, v2                               // 0000000081F0: 17B005D5
	v_sub_f32_e32 v21, v2, v216                                // 0000000081F4: 042BB102
	v_cndmask_b32_e64 v21, v21, 0, s[36:37]                    // 0000000081F8: D1000015 00910115
	v_mov_b32_e32 v2, v216                                     // 000000008200: 7E0403D8
	v_mul_f32_e32 v212, s5, v216                               // 000000008204: 0BA9B005
	v_mul_f32_e32 v21, s5, v21                                 // 000000008208: 0A2A2A05
	v_exp_f32_e32 v21, v21                                     // 00000000820C: 7E2A4115
	v_fma_f32 v44, v44, s5, -v212                              // 000000008210: D1CB002C 87500B2C
	v_fma_f32 v45, v45, s5, -v212                              // 000000008218: D1CB002D 87500B2D
	v_fma_f32 v46, v46, s5, -v212                              // 000000008220: D1CB002E 87500B2E
	v_fma_f32 v47, v47, s5, -v212                              // 000000008228: D1CB002F 87500B2F
	v_fma_f32 v48, v48, s5, -v212                              // 000000008230: D1CB0030 87500B30
	v_fma_f32 v49, v49, s5, -v212                              // 000000008238: D1CB0031 87500B31
	v_fma_f32 v50, v50, s5, -v212                              // 000000008240: D1CB0032 87500B32
	v_fma_f32 v51, v51, s5, -v212                              // 000000008248: D1CB0033 87500B33
	v_fma_f32 v52, v52, s5, -v212                              // 000000008250: D1CB0034 87500B34
	v_fma_f32 v53, v53, s5, -v212                              // 000000008258: D1CB0035 87500B35
	v_fma_f32 v54, v54, s5, -v212                              // 000000008260: D1CB0036 87500B36
	v_fma_f32 v55, v55, s5, -v212                              // 000000008268: D1CB0037 87500B37
	v_fma_f32 v56, v56, s5, -v212                              // 000000008270: D1CB0038 87500B38
	v_fma_f32 v57, v57, s5, -v212                              // 000000008278: D1CB0039 87500B39
	v_fma_f32 v58, v58, s5, -v212                              // 000000008280: D1CB003A 87500B3A
	v_fma_f32 v59, v59, s5, -v212                              // 000000008288: D1CB003B 87500B3B
	v_mov_b32_e32 v35, 0xffc00000                              // 000000008290: 7E4602FF FFC00000
	v_exp_f32_e32 v44, v44                                     // 000000008298: 7E58412C
	v_exp_f32_e32 v45, v45                                     // 00000000829C: 7E5A412D
	v_exp_f32_e32 v46, v46                                     // 0000000082A0: 7E5C412E
	v_exp_f32_e32 v47, v47                                     // 0000000082A4: 7E5E412F
	v_exp_f32_e32 v48, v48                                     // 0000000082A8: 7E604130
	v_exp_f32_e32 v49, v49                                     // 0000000082AC: 7E624131
	v_exp_f32_e32 v50, v50                                     // 0000000082B0: 7E644132
	v_exp_f32_e32 v51, v51                                     // 0000000082B4: 7E664133
	v_exp_f32_e32 v52, v52                                     // 0000000082B8: 7E684134
	v_exp_f32_e32 v53, v53                                     // 0000000082BC: 7E6A4135
	v_exp_f32_e32 v54, v54                                     // 0000000082C0: 7E6C4136
	v_exp_f32_e32 v55, v55                                     // 0000000082C4: 7E6E4137
	v_exp_f32_e32 v56, v56                                     // 0000000082C8: 7E704138
	v_exp_f32_e32 v57, v57                                     // 0000000082CC: 7E724139
	v_exp_f32_e32 v58, v58                                     // 0000000082D0: 7E74413A
	v_exp_f32_e32 v59, v59                                     // 0000000082D4: 7E76413B
	v_mul_f32_e32 v4, v21, v4                                  // 0000000082D8: 0A080915
	v_mov_b32_e32 v35, v44                                     // 0000000082DC: 7E46032C
	v_add_f32_e32 v35, v45, v35                                // 0000000082E0: 0246472D
	v_add_f32_e32 v35, v46, v35                                // 0000000082E4: 0246472E
	v_add_f32_e32 v35, v47, v35                                // 0000000082E8: 0246472F
	v_add_f32_e32 v35, v48, v35                                // 0000000082EC: 02464730
	v_add_f32_e32 v35, v49, v35                                // 0000000082F0: 02464731
	v_add_f32_e32 v35, v50, v35                                // 0000000082F4: 02464732
	v_add_f32_e32 v35, v51, v35                                // 0000000082F8: 02464733
	v_add_f32_e32 v35, v52, v35                                // 0000000082FC: 02464734
	v_add_f32_e32 v35, v53, v35                                // 000000008300: 02464735
	v_add_f32_e32 v35, v54, v35                                // 000000008304: 02464736
	;; [unrolled: 1-line block ×3, first 2 shown]
	v_add_f32_e32 v35, v56, v35                                // 00000000830C: 02464738
	v_add_f32_e32 v35, v57, v35                                // 000000008310: 02464739
	v_add_f32_e32 v35, v58, v35                                // 000000008314: 0246473A
	v_add_f32_e32 v35, v59, v35                                // 000000008318: 0246473B
	v_add_f32_e32 v4, v35, v4                                  // 00000000831C: 02080923
	v_cvt_pk_fp8_f32 v44, v44, v45                             // 000000008320: D2A2002C 00025B2C
	v_cvt_pk_fp8_f32 v44, v46, v47 op_sel:[0,0,1]              // 000000008328: D2A2402C 00025F2E
	v_cvt_pk_fp8_f32 v45, v48, v49                             // 000000008330: D2A2002D 00026330
	v_cvt_pk_fp8_f32 v45, v50, v51 op_sel:[0,0,1]              // 000000008338: D2A2402D 00026732
	v_cvt_pk_fp8_f32 v46, v52, v53                             // 000000008340: D2A2002E 00026B34
	v_cvt_pk_fp8_f32 v46, v54, v55 op_sel:[0,0,1]              // 000000008348: D2A2402E 00026F36
	v_cvt_pk_fp8_f32 v47, v56, v57                             // 000000008350: D2A2002F 00027338
	v_cvt_pk_fp8_f32 v47, v58, v59 op_sel:[0,0,1]              // 000000008358: D2A2402F 0002773A
	ds_write_b128 v43, v[44:47] offset:1024                    // 000000008360: D9BE0400 00002C2B
	s_waitcnt lgkmcnt(0)                                       // 000000008368: BF8CC07F
	s_barrier                                                  // 00000000836C: BF8A0000
	ds_read_b128 v[44:47], v42 offset:1024                     // 000000008370: D9FE0400 2C00002A
	ds_read_b128 v[48:51], v42 offset:2048                     // 000000008378: D9FE0800 3000002A
	s_waitcnt lgkmcnt(0)                                       // 000000008380: BF8CC07F
	v_permlane32_swap_b32_e32 v44, v46                         // 000000008384: 7E58B52E
	v_permlane32_swap_b32_e32 v45, v47                         // 000000008388: 7E5AB52F
	v_swap_b32 v45, v46                                        // 00000000838C: 7E5AA32E
	v_permlane32_swap_b32_e32 v48, v50                         // 000000008390: 7E60B532
	v_permlane32_swap_b32_e32 v49, v51                         // 000000008394: 7E62B533
	v_swap_b32 v49, v50                                        // 000000008398: 7E62A332
	ds_read_b64_tr_b8 a[72:73], v13                            // 00000000839C: DBC40000 4800000D
	ds_read_b64_tr_b8 a[74:75], v14                            // 0000000083A4: DBC40000 4A00000E
	ds_read_b64_tr_b8 a[76:77], v13 offset:18432               // 0000000083AC: DBC44800 4C00000D
	ds_read_b64_tr_b8 a[78:79], v14 offset:18432               // 0000000083B4: DBC44800 4E00000E
	ds_read_b64_tr_b8 a[80:81], v15                            // 0000000083BC: DBC40000 5000000F
	ds_read_b64_tr_b8 a[82:83], v16                            // 0000000083C4: DBC40000 52000010
	ds_read_b64_tr_b8 a[84:85], v15 offset:18432               // 0000000083CC: DBC44800 5400000F
	ds_read_b64_tr_b8 a[86:87], v16 offset:18432               // 0000000083D4: DBC44800 56000010
	ds_read_b64_tr_b8 a[88:89], v13 offset:1024                // 0000000083DC: DBC40400 5800000D
	ds_read_b64_tr_b8 a[90:91], v14 offset:1024                // 0000000083E4: DBC40400 5A00000E
	ds_read_b64_tr_b8 a[92:93], v13 offset:19456               // 0000000083EC: DBC44C00 5C00000D
	ds_read_b64_tr_b8 a[94:95], v14 offset:19456               // 0000000083F4: DBC44C00 5E00000E
	ds_read_b64_tr_b8 a[96:97], v15 offset:1024                // 0000000083FC: DBC40400 6000000F
	ds_read_b64_tr_b8 a[98:99], v16 offset:1024                // 000000008404: DBC40400 62000010
	ds_read_b64_tr_b8 a[100:101], v15 offset:19456             // 00000000840C: DBC44C00 6400000F
	ds_read_b64_tr_b8 a[102:103], v16 offset:19456             // 000000008414: DBC44C00 66000010
	ds_read_b64_tr_b8 a[104:105], v13 offset:2048              // 00000000841C: DBC40800 6800000D
	ds_read_b64_tr_b8 a[106:107], v14 offset:2048              // 000000008424: DBC40800 6A00000E
	ds_read_b64_tr_b8 a[108:109], v13 offset:20480             // 00000000842C: DBC45000 6C00000D
	ds_read_b64_tr_b8 a[110:111], v14 offset:20480             // 000000008434: DBC45000 6E00000E
	ds_read_b64_tr_b8 a[112:113], v15 offset:2048              // 00000000843C: DBC40800 7000000F
	ds_read_b64_tr_b8 a[114:115], v16 offset:2048              // 000000008444: DBC40800 72000010
	ds_read_b64_tr_b8 a[116:117], v15 offset:20480             // 00000000844C: DBC45000 7400000F
	ds_read_b64_tr_b8 a[118:119], v16 offset:20480             // 000000008454: DBC45000 76000010
	ds_read_b64_tr_b8 a[120:121], v13 offset:3072              // 00000000845C: DBC40C00 7800000D
	ds_read_b64_tr_b8 a[122:123], v14 offset:3072              // 000000008464: DBC40C00 7A00000E
	ds_read_b64_tr_b8 a[124:125], v13 offset:21504             // 00000000846C: DBC45400 7C00000D
	ds_read_b64_tr_b8 a[126:127], v14 offset:21504             // 000000008474: DBC45400 7E00000E
	ds_read_b64_tr_b8 a[128:129], v15 offset:3072              // 00000000847C: DBC40C00 8000000F
	ds_read_b64_tr_b8 a[130:131], v16 offset:3072              // 000000008484: DBC40C00 82000010
	ds_read_b64_tr_b8 a[132:133], v15 offset:21504             // 00000000848C: DBC45400 8400000F
	ds_read_b64_tr_b8 a[134:135], v16 offset:21504             // 000000008494: DBC45400 86000010
	s_waitcnt lgkmcnt(4)                                       // 00000000849C: BF8CC47F
	v_mfma_f32_32x32x64_f8f6f4 v[76:91], a[72:79], v[60:67], v[76:91]// 0000000084A0: D3AE004C 0D327948
	ds_read_b64_tr_b8 a[72:73], v17                            // 0000000084A8: DBC40000 48000011
	ds_read_b64_tr_b8 a[74:75], v18                            // 0000000084B0: DBC40000 4A000012
	ds_read_b64_tr_b8 a[76:77], v17 offset:18432               // 0000000084B8: DBC44800 4C000011
	ds_read_b64_tr_b8 a[78:79], v18 offset:18432               // 0000000084C0: DBC44800 4E000012
	v_mfma_f32_32x32x64_f8f6f4 v[92:107], a[80:87], v[60:67], v[92:107]// 0000000084C8: D3AE005C 0D727950
	ds_read_b64_tr_b8 a[80:81], v19                            // 0000000084D0: DBC40000 50000013
	ds_read_b64_tr_b8 a[82:83], v20                            // 0000000084D8: DBC40000 52000014
	ds_read_b64_tr_b8 a[84:85], v19 offset:18432               // 0000000084E0: DBC44800 54000013
	ds_read_b64_tr_b8 a[86:87], v20 offset:18432               // 0000000084E8: DBC44800 56000014
	v_mfma_f32_32x32x64_f8f6f4 v[108:123], a[88:95], v[60:67], v[108:123]// 0000000084F0: D3AE006C 0DB27958
	ds_read_b64_tr_b8 a[88:89], v17 offset:1024                // 0000000084F8: DBC40400 58000011
	ds_read_b64_tr_b8 a[90:91], v18 offset:1024                // 000000008500: DBC40400 5A000012
	ds_read_b64_tr_b8 a[92:93], v17 offset:19456               // 000000008508: DBC44C00 5C000011
	ds_read_b64_tr_b8 a[94:95], v18 offset:19456               // 000000008510: DBC44C00 5E000012
	v_mfma_f32_32x32x64_f8f6f4 v[124:139], a[96:103], v[60:67], v[124:139]// 000000008518: D3AE007C 0DF27960
	ds_read_b64_tr_b8 a[96:97], v19 offset:1024                // 000000008520: DBC40400 60000013
	ds_read_b64_tr_b8 a[98:99], v20 offset:1024                // 000000008528: DBC40400 62000014
	ds_read_b64_tr_b8 a[100:101], v19 offset:19456             // 000000008530: DBC44C00 64000013
	ds_read_b64_tr_b8 a[102:103], v20 offset:19456             // 000000008538: DBC44C00 66000014
	v_mfma_f32_32x32x64_f8f6f4 v[140:155], a[104:111], v[60:67], v[140:155]// 000000008540: D3AE008C 0E327968
	ds_read_b64_tr_b8 a[104:105], v17 offset:2048              // 000000008548: DBC40800 68000011
	ds_read_b64_tr_b8 a[106:107], v18 offset:2048              // 000000008550: DBC40800 6A000012
	ds_read_b64_tr_b8 a[108:109], v17 offset:20480             // 000000008558: DBC45000 6C000011
	ds_read_b64_tr_b8 a[110:111], v18 offset:20480             // 000000008560: DBC45000 6E000012
	v_mfma_f32_32x32x64_f8f6f4 v[156:171], a[112:119], v[60:67], v[156:171]// 000000008568: D3AE009C 0E727970
	ds_read_b64_tr_b8 a[112:113], v19 offset:2048              // 000000008570: DBC40800 70000013
	ds_read_b64_tr_b8 a[114:115], v20 offset:2048              // 000000008578: DBC40800 72000014
	ds_read_b64_tr_b8 a[116:117], v19 offset:20480             // 000000008580: DBC45000 74000013
	ds_read_b64_tr_b8 a[118:119], v20 offset:20480             // 000000008588: DBC45000 76000014
	v_mfma_f32_32x32x64_f8f6f4 v[172:187], a[120:127], v[60:67], v[172:187]// 000000008590: D3AE00AC 0EB27978
	ds_read_b64_tr_b8 a[120:121], v17 offset:3072              // 000000008598: DBC40C00 78000011
	ds_read_b64_tr_b8 a[122:123], v18 offset:3072              // 0000000085A0: DBC40C00 7A000012
	ds_read_b64_tr_b8 a[124:125], v17 offset:21504             // 0000000085A8: DBC45400 7C000011
	ds_read_b64_tr_b8 a[126:127], v18 offset:21504             // 0000000085B0: DBC45400 7E000012
	v_mfma_f32_32x32x64_f8f6f4 v[188:203], a[128:135], v[60:67], v[188:203]// 0000000085B8: D3AE00BC 0EF27980
	ds_read_b64_tr_b8 a[128:129], v19 offset:3072              // 0000000085C0: DBC40C00 80000013
	ds_read_b64_tr_b8 a[130:131], v20 offset:3072              // 0000000085C8: DBC40C00 82000014
	ds_read_b64_tr_b8 a[132:133], v19 offset:21504             // 0000000085D0: DBC45400 84000013
	ds_read_b64_tr_b8 a[134:135], v20 offset:21504             // 0000000085D8: DBC45400 86000014
	v_mov_b32_e32 v36, v21                                     // 0000000085E0: 7E480315
	v_mov_b32_e32 v37, v21                                     // 0000000085E4: 7E4A0315
	v_pk_mul_f32 v[76:77], v[36:37], v[76:77]                  // 0000000085E8: D3B1404C 18029924
	v_pk_mul_f32 v[78:79], v[36:37], v[78:79]                  // 0000000085F0: D3B1404E 18029D24
	v_pk_mul_f32 v[80:81], v[36:37], v[80:81]                  // 0000000085F8: D3B14050 1802A124
	v_pk_mul_f32 v[82:83], v[36:37], v[82:83]                  // 000000008600: D3B14052 1802A524
	v_pk_mul_f32 v[84:85], v[36:37], v[84:85]                  // 000000008608: D3B14054 1802A924
	v_pk_mul_f32 v[86:87], v[36:37], v[86:87]                  // 000000008610: D3B14056 1802AD24
	v_pk_mul_f32 v[88:89], v[36:37], v[88:89]                  // 000000008618: D3B14058 1802B124
	v_pk_mul_f32 v[90:91], v[36:37], v[90:91]                  // 000000008620: D3B1405A 1802B524
	v_pk_mul_f32 v[92:93], v[36:37], v[92:93]                  // 000000008628: D3B1405C 1802B924
	v_pk_mul_f32 v[94:95], v[36:37], v[94:95]                  // 000000008630: D3B1405E 1802BD24
	v_pk_mul_f32 v[96:97], v[36:37], v[96:97]                  // 000000008638: D3B14060 1802C124
	v_pk_mul_f32 v[98:99], v[36:37], v[98:99]                  // 000000008640: D3B14062 1802C524
	v_pk_mul_f32 v[100:101], v[36:37], v[100:101]              // 000000008648: D3B14064 1802C924
	v_pk_mul_f32 v[102:103], v[36:37], v[102:103]              // 000000008650: D3B14066 1802CD24
	v_pk_mul_f32 v[104:105], v[36:37], v[104:105]              // 000000008658: D3B14068 1802D124
	v_pk_mul_f32 v[106:107], v[36:37], v[106:107]              // 000000008660: D3B1406A 1802D524
	v_pk_mul_f32 v[108:109], v[36:37], v[108:109]              // 000000008668: D3B1406C 1802D924
	v_pk_mul_f32 v[110:111], v[36:37], v[110:111]              // 000000008670: D3B1406E 1802DD24
	v_pk_mul_f32 v[112:113], v[36:37], v[112:113]              // 000000008678: D3B14070 1802E124
	v_pk_mul_f32 v[114:115], v[36:37], v[114:115]              // 000000008680: D3B14072 1802E524
	v_pk_mul_f32 v[116:117], v[36:37], v[116:117]              // 000000008688: D3B14074 1802E924
	v_pk_mul_f32 v[118:119], v[36:37], v[118:119]              // 000000008690: D3B14076 1802ED24
	v_pk_mul_f32 v[120:121], v[36:37], v[120:121]              // 000000008698: D3B14078 1802F124
	v_pk_mul_f32 v[122:123], v[36:37], v[122:123]              // 0000000086A0: D3B1407A 1802F524
	v_pk_mul_f32 v[124:125], v[36:37], v[124:125]              // 0000000086A8: D3B1407C 1802F924
	v_pk_mul_f32 v[126:127], v[36:37], v[126:127]              // 0000000086B0: D3B1407E 1802FD24
	v_pk_mul_f32 v[128:129], v[36:37], v[128:129]              // 0000000086B8: D3B14080 18030124
	v_pk_mul_f32 v[130:131], v[36:37], v[130:131]              // 0000000086C0: D3B14082 18030524
	v_pk_mul_f32 v[132:133], v[36:37], v[132:133]              // 0000000086C8: D3B14084 18030924
	v_pk_mul_f32 v[134:135], v[36:37], v[134:135]              // 0000000086D0: D3B14086 18030D24
	v_pk_mul_f32 v[136:137], v[36:37], v[136:137]              // 0000000086D8: D3B14088 18031124
	v_pk_mul_f32 v[138:139], v[36:37], v[138:139]              // 0000000086E0: D3B1408A 18031524
	v_pk_mul_f32 v[140:141], v[36:37], v[140:141]              // 0000000086E8: D3B1408C 18031924
	v_pk_mul_f32 v[142:143], v[36:37], v[142:143]              // 0000000086F0: D3B1408E 18031D24
	v_pk_mul_f32 v[144:145], v[36:37], v[144:145]              // 0000000086F8: D3B14090 18032124
	v_pk_mul_f32 v[146:147], v[36:37], v[146:147]              // 000000008700: D3B14092 18032524
	v_pk_mul_f32 v[148:149], v[36:37], v[148:149]              // 000000008708: D3B14094 18032924
	v_pk_mul_f32 v[150:151], v[36:37], v[150:151]              // 000000008710: D3B14096 18032D24
	v_pk_mul_f32 v[152:153], v[36:37], v[152:153]              // 000000008718: D3B14098 18033124
	v_pk_mul_f32 v[154:155], v[36:37], v[154:155]              // 000000008720: D3B1409A 18033524
	v_pk_mul_f32 v[156:157], v[36:37], v[156:157]              // 000000008728: D3B1409C 18033924
	v_pk_mul_f32 v[158:159], v[36:37], v[158:159]              // 000000008730: D3B1409E 18033D24
	v_pk_mul_f32 v[160:161], v[36:37], v[160:161]              // 000000008738: D3B140A0 18034124
	v_pk_mul_f32 v[162:163], v[36:37], v[162:163]              // 000000008740: D3B140A2 18034524
	v_pk_mul_f32 v[164:165], v[36:37], v[164:165]              // 000000008748: D3B140A4 18034924
	v_pk_mul_f32 v[166:167], v[36:37], v[166:167]              // 000000008750: D3B140A6 18034D24
	v_pk_mul_f32 v[168:169], v[36:37], v[168:169]              // 000000008758: D3B140A8 18035124
	v_pk_mul_f32 v[170:171], v[36:37], v[170:171]              // 000000008760: D3B140AA 18035524
	v_pk_mul_f32 v[172:173], v[36:37], v[172:173]              // 000000008768: D3B140AC 18035924
	v_pk_mul_f32 v[174:175], v[36:37], v[174:175]              // 000000008770: D3B140AE 18035D24
	v_pk_mul_f32 v[176:177], v[36:37], v[176:177]              // 000000008778: D3B140B0 18036124
	v_pk_mul_f32 v[178:179], v[36:37], v[178:179]              // 000000008780: D3B140B2 18036524
	v_pk_mul_f32 v[180:181], v[36:37], v[180:181]              // 000000008788: D3B140B4 18036924
	v_pk_mul_f32 v[182:183], v[36:37], v[182:183]              // 000000008790: D3B140B6 18036D24
	v_pk_mul_f32 v[184:185], v[36:37], v[184:185]              // 000000008798: D3B140B8 18037124
	v_pk_mul_f32 v[186:187], v[36:37], v[186:187]              // 0000000087A0: D3B140BA 18037524
	v_pk_mul_f32 v[188:189], v[36:37], v[188:189]              // 0000000087A8: D3B140BC 18037924
	v_pk_mul_f32 v[190:191], v[36:37], v[190:191]              // 0000000087B0: D3B140BE 18037D24
	v_pk_mul_f32 v[192:193], v[36:37], v[192:193]              // 0000000087B8: D3B140C0 18038124
	v_pk_mul_f32 v[194:195], v[36:37], v[194:195]              // 0000000087C0: D3B140C2 18038524
	v_pk_mul_f32 v[196:197], v[36:37], v[196:197]              // 0000000087C8: D3B140C4 18038924
	v_pk_mul_f32 v[198:199], v[36:37], v[198:199]              // 0000000087D0: D3B140C6 18038D24
	v_pk_mul_f32 v[200:201], v[36:37], v[200:201]              // 0000000087D8: D3B140C8 18039124
	v_pk_mul_f32 v[202:203], v[36:37], v[202:203]              // 0000000087E0: D3B140CA 18039524
	s_waitcnt vmcnt(0)                                         // 0000000087E8: BF8C0F70
	s_barrier                                                  // 0000000087EC: BF8A0000
	v_mfma_f32_32x32x64_f8f6f4 v[76:91], a[72:79], v[44:51], v[76:91]// 0000000087F0: D3AE004C 0D325948
	ds_read_b128 a[72:75], v22                                 // 0000000087F8: DBFE0000 48000016
	ds_read_b128 a[76:79], v23                                 // 000000008800: DBFE0000 4C000017
	v_mfma_f32_32x32x64_f8f6f4 v[92:107], a[80:87], v[44:51], v[92:107]// 000000008808: D3AE005C 0D725950
	ds_read_b128 a[80:83], v22 offset:1024                     // 000000008810: DBFE0400 50000016
	ds_read_b128 a[84:87], v23 offset:1024                     // 000000008818: DBFE0400 54000017
	v_mfma_f32_32x32x64_f8f6f4 v[108:123], a[88:95], v[44:51], v[108:123]// 000000008820: D3AE006C 0DB25958
	ds_read_b128 a[88:91], v22 offset:2048                     // 000000008828: DBFE0800 58000016
	ds_read_b128 a[92:95], v23 offset:2048                     // 000000008830: DBFE0800 5C000017
	v_mfma_f32_32x32x64_f8f6f4 v[124:139], a[96:103], v[44:51], v[124:139]// 000000008838: D3AE007C 0DF25960
	ds_read_b128 a[96:99], v22 offset:3072                     // 000000008840: DBFE0C00 60000016
	ds_read_b128 a[100:103], v23 offset:3072                   // 000000008848: DBFE0C00 64000017
	v_mfma_f32_32x32x64_f8f6f4 v[140:155], a[104:111], v[44:51], v[140:155]// 000000008850: D3AE008C 0E325968
	ds_read_b128 a[104:107], v22 offset:4096                   // 000000008858: DBFE1000 68000016
	ds_read_b128 a[108:111], v23 offset:4096                   // 000000008860: DBFE1000 6C000017
	v_mfma_f32_32x32x64_f8f6f4 v[156:171], a[112:119], v[44:51], v[156:171]// 000000008868: D3AE009C 0E725970
	ds_read_b128 a[112:115], v22 offset:5120                   // 000000008870: DBFE1400 70000016
	ds_read_b128 a[116:119], v23 offset:5120                   // 000000008878: DBFE1400 74000017
	v_mfma_f32_32x32x64_f8f6f4 v[172:187], a[120:127], v[44:51], v[172:187]// 000000008880: D3AE00AC 0EB25978
	ds_read_b128 a[120:123], v22 offset:6144                   // 000000008888: DBFE1800 78000016
	ds_read_b128 a[124:127], v23 offset:6144                   // 000000008890: DBFE1800 7C000017
	v_mfma_f32_32x32x64_f8f6f4 v[188:203], a[128:135], v[44:51], v[188:203]// 000000008898: D3AE00BC 0EF25980
	ds_read_b128 a[128:131], v22 offset:7168                   // 0000000088A0: DBFE1C00 80000016
	ds_read_b128 a[132:135], v23 offset:7168                   // 0000000088A8: DBFE1C00 84000017
	ds_read_b128 a[136:139], v22 offset:8192                   // 0000000088B0: DBFE2000 88000016
	ds_read_b128 a[140:143], v23 offset:8192                   // 0000000088B8: DBFE2000 8C000017
	s_branch label_6C34                                        // 0000000088C0: BF8201DC

00000000000088c4 <label_64C4>:
	s_nop 2                                                    // 0000000088C4: BF800002
	v_mov_b32_e32 v213, v60                                    // 0000000088C8: 7FAA033C
	v_max3_f32 v213, v60, v61, v213                            // 0000000088CC: D1D300D5 07567B3C
	v_max3_f32 v213, v62, v63, v213                            // 0000000088D4: D1D300D5 07567F3E
	v_max3_f32 v213, v64, v65, v213                            // 0000000088DC: D1D300D5 07568340
	v_max3_f32 v213, v66, v67, v213                            // 0000000088E4: D1D300D5 07568742
	v_max3_f32 v213, v68, v69, v213                            // 0000000088EC: D1D300D5 07568B44
	v_max3_f32 v213, v70, v71, v213                            // 0000000088F4: D1D300D5 07568F46
	v_max3_f32 v213, v72, v73, v213                            // 0000000088FC: D1D300D5 07569348
	v_max3_f32 v213, v74, v75, v213                            // 000000008904: D1D300D5 0756974A
	v_mov_b32_e32 v35, v213                                    // 00000000890C: 7E4603D5
	v_mov_b32_e32 v36, v213                                    // 000000008910: 7E4803D5
	s_nop 1                                                    // 000000008914: BF800001
	v_permlane32_swap_b32_e32 v35, v36                         // 000000008918: 7E46B524
	v_max3_f32 v213, v35, v36, v213                            // 00000000891C: D1D300D5 07564923
	ds_write_b32 v41, v213                                     // 000000008924: D81A0000 0000D529
	s_waitcnt lgkmcnt(0)                                       // 00000000892C: BF8CC07F
	s_barrier                                                  // 000000008930: BF8A0000
	ds_read_b32 v35, v40                                       // 000000008934: D86C0000 23000028
	ds_read_b32 v36, v40 offset:256                            // 00000000893C: D86C0100 24000028
	s_waitcnt lgkmcnt(0)                                       // 000000008944: BF8CC07F
	v_max3_f32 v213, v35, v36, v213                            // 000000008948: D1D300D5 07564923
	v_mov_b32_e32 v35, 0xff800000                              // 000000008950: 7E4602FF FF800000
	v_cmp_eq_u32_e64 s[36:37], v35, v2                         // 000000008958: D0CA0024 00020523
	v_max_f32_e32 v216, v213, v2                               // 000000008960: 17B005D5
	v_sub_f32_e32 v21, v2, v216                                // 000000008964: 042BB102
	v_cndmask_b32_e64 v21, v21, 0, s[36:37]                    // 000000008968: D1000015 00910115
	v_mov_b32_e32 v2, v216                                     // 000000008970: 7E0403D8
	v_mul_f32_e32 v212, s5, v216                               // 000000008974: 0BA9B005
	v_mul_f32_e32 v21, s5, v21                                 // 000000008978: 0A2A2A05
	v_exp_f32_e32 v21, v21                                     // 00000000897C: 7E2A4115
	v_fma_f32 v60, v60, s5, -v212                              // 000000008980: D1CB003C 87500B3C
	v_fma_f32 v61, v61, s5, -v212                              // 000000008988: D1CB003D 87500B3D
	v_fma_f32 v62, v62, s5, -v212                              // 000000008990: D1CB003E 87500B3E
	v_fma_f32 v63, v63, s5, -v212                              // 000000008998: D1CB003F 87500B3F
	v_fma_f32 v64, v64, s5, -v212                              // 0000000089A0: D1CB0040 87500B40
	v_fma_f32 v65, v65, s5, -v212                              // 0000000089A8: D1CB0041 87500B41
	v_fma_f32 v66, v66, s5, -v212                              // 0000000089B0: D1CB0042 87500B42
	v_fma_f32 v67, v67, s5, -v212                              // 0000000089B8: D1CB0043 87500B43
	v_fma_f32 v68, v68, s5, -v212                              // 0000000089C0: D1CB0044 87500B44
	v_fma_f32 v69, v69, s5, -v212                              // 0000000089C8: D1CB0045 87500B45
	v_fma_f32 v70, v70, s5, -v212                              // 0000000089D0: D1CB0046 87500B46
	v_fma_f32 v71, v71, s5, -v212                              // 0000000089D8: D1CB0047 87500B47
	v_fma_f32 v72, v72, s5, -v212                              // 0000000089E0: D1CB0048 87500B48
	v_fma_f32 v73, v73, s5, -v212                              // 0000000089E8: D1CB0049 87500B49
	v_fma_f32 v74, v74, s5, -v212                              // 0000000089F0: D1CB004A 87500B4A
	v_fma_f32 v75, v75, s5, -v212                              // 0000000089F8: D1CB004B 87500B4B
	v_mov_b32_e32 v35, 0xffc00000                              // 000000008A00: 7E4602FF FFC00000
	v_exp_f32_e32 v60, v60                                     // 000000008A08: 7E78413C
	v_exp_f32_e32 v61, v61                                     // 000000008A0C: 7E7A413D
	v_exp_f32_e32 v62, v62                                     // 000000008A10: 7E7C413E
	v_exp_f32_e32 v63, v63                                     // 000000008A14: 7E7E413F
	v_exp_f32_e32 v64, v64                                     // 000000008A18: 7E804140
	v_exp_f32_e32 v65, v65                                     // 000000008A1C: 7E824141
	v_exp_f32_e32 v66, v66                                     // 000000008A20: 7E844142
	v_exp_f32_e32 v67, v67                                     // 000000008A24: 7E864143
	v_exp_f32_e32 v68, v68                                     // 000000008A28: 7E884144
	v_exp_f32_e32 v69, v69                                     // 000000008A2C: 7E8A4145
	v_exp_f32_e32 v70, v70                                     // 000000008A30: 7E8C4146
	v_exp_f32_e32 v71, v71                                     // 000000008A34: 7E8E4147
	v_exp_f32_e32 v72, v72                                     // 000000008A38: 7E904148
	v_exp_f32_e32 v73, v73                                     // 000000008A3C: 7E924149
	v_exp_f32_e32 v74, v74                                     // 000000008A40: 7E94414A
	v_exp_f32_e32 v75, v75                                     // 000000008A44: 7E96414B
	v_mul_f32_e32 v4, v21, v4                                  // 000000008A48: 0A080915
	v_mov_b32_e32 v35, v60                                     // 000000008A4C: 7E46033C
	v_add_f32_e32 v35, v61, v35                                // 000000008A50: 0246473D
	v_add_f32_e32 v35, v62, v35                                // 000000008A54: 0246473E
	v_add_f32_e32 v35, v63, v35                                // 000000008A58: 0246473F
	v_add_f32_e32 v35, v64, v35                                // 000000008A5C: 02464740
	v_add_f32_e32 v35, v65, v35                                // 000000008A60: 02464741
	v_add_f32_e32 v35, v66, v35                                // 000000008A64: 02464742
	v_add_f32_e32 v35, v67, v35                                // 000000008A68: 02464743
	v_add_f32_e32 v35, v68, v35                                // 000000008A6C: 02464744
	v_add_f32_e32 v35, v69, v35                                // 000000008A70: 02464745
	v_add_f32_e32 v35, v70, v35                                // 000000008A74: 02464746
	v_add_f32_e32 v35, v71, v35                                // 000000008A78: 02464747
	v_add_f32_e32 v35, v72, v35                                // 000000008A7C: 02464748
	v_add_f32_e32 v35, v73, v35                                // 000000008A80: 02464749
	v_add_f32_e32 v35, v74, v35                                // 000000008A84: 0246474A
	v_add_f32_e32 v35, v75, v35                                // 000000008A88: 0246474B
	v_add_f32_e32 v4, v35, v4                                  // 000000008A8C: 02080923
	v_cvt_pk_fp8_f32 v60, v60, v61                             // 000000008A90: D2A2003C 00027B3C
	v_cvt_pk_fp8_f32 v60, v62, v63 op_sel:[0,0,1]              // 000000008A98: D2A2403C 00027F3E
	v_cvt_pk_fp8_f32 v61, v64, v65                             // 000000008AA0: D2A2003D 00028340
	v_cvt_pk_fp8_f32 v61, v66, v67 op_sel:[0,0,1]              // 000000008AA8: D2A2403D 00028742
	v_cvt_pk_fp8_f32 v62, v68, v69                             // 000000008AB0: D2A2003E 00028B44
	v_cvt_pk_fp8_f32 v62, v70, v71 op_sel:[0,0,1]              // 000000008AB8: D2A2403E 00028F46
	v_cvt_pk_fp8_f32 v63, v72, v73                             // 000000008AC0: D2A2003F 00029348
	v_cvt_pk_fp8_f32 v63, v74, v75 op_sel:[0,0,1]              // 000000008AC8: D2A2403F 0002974A
	ds_write_b128 v43, v[60:63] offset:1024                    // 000000008AD0: D9BE0400 00003C2B
	s_waitcnt lgkmcnt(0)                                       // 000000008AD8: BF8CC07F
	s_barrier                                                  // 000000008ADC: BF8A0000
	ds_read_b128 v[60:63], v42 offset:1024                     // 000000008AE0: D9FE0400 3C00002A
	ds_read_b128 v[64:67], v42 offset:2048                     // 000000008AE8: D9FE0800 4000002A
	s_waitcnt lgkmcnt(0)                                       // 000000008AF0: BF8CC07F
	v_permlane32_swap_b32_e32 v60, v62                         // 000000008AF4: 7E78B53E
	v_permlane32_swap_b32_e32 v61, v63                         // 000000008AF8: 7E7AB53F
	v_swap_b32 v61, v62                                        // 000000008AFC: 7E7AA33E
	v_permlane32_swap_b32_e32 v64, v66                         // 000000008B00: 7E80B542
	v_permlane32_swap_b32_e32 v65, v67                         // 000000008B04: 7E82B543
	v_swap_b32 v65, v66                                        // 000000008B08: 7E82A342
	ds_read_b64_tr_b8 a[72:73], v17                            // 000000008B0C: DBC40000 48000011
	ds_read_b64_tr_b8 a[74:75], v18                            // 000000008B14: DBC40000 4A000012
	ds_read_b64_tr_b8 a[76:77], v17 offset:18432               // 000000008B1C: DBC44800 4C000011
	ds_read_b64_tr_b8 a[78:79], v18 offset:18432               // 000000008B24: DBC44800 4E000012
	ds_read_b64_tr_b8 a[80:81], v19                            // 000000008B2C: DBC40000 50000013
	ds_read_b64_tr_b8 a[82:83], v20                            // 000000008B34: DBC40000 52000014
	ds_read_b64_tr_b8 a[84:85], v19 offset:18432               // 000000008B3C: DBC44800 54000013
	ds_read_b64_tr_b8 a[86:87], v20 offset:18432               // 000000008B44: DBC44800 56000014
	ds_read_b64_tr_b8 a[88:89], v17 offset:1024                // 000000008B4C: DBC40400 58000011
	ds_read_b64_tr_b8 a[90:91], v18 offset:1024                // 000000008B54: DBC40400 5A000012
	ds_read_b64_tr_b8 a[92:93], v17 offset:19456               // 000000008B5C: DBC44C00 5C000011
	ds_read_b64_tr_b8 a[94:95], v18 offset:19456               // 000000008B64: DBC44C00 5E000012
	ds_read_b64_tr_b8 a[96:97], v19 offset:1024                // 000000008B6C: DBC40400 60000013
	ds_read_b64_tr_b8 a[98:99], v20 offset:1024                // 000000008B74: DBC40400 62000014
	ds_read_b64_tr_b8 a[100:101], v19 offset:19456             // 000000008B7C: DBC44C00 64000013
	ds_read_b64_tr_b8 a[102:103], v20 offset:19456             // 000000008B84: DBC44C00 66000014
	ds_read_b64_tr_b8 a[104:105], v17 offset:2048              // 000000008B8C: DBC40800 68000011
	ds_read_b64_tr_b8 a[106:107], v18 offset:2048              // 000000008B94: DBC40800 6A000012
	ds_read_b64_tr_b8 a[108:109], v17 offset:20480             // 000000008B9C: DBC45000 6C000011
	ds_read_b64_tr_b8 a[110:111], v18 offset:20480             // 000000008BA4: DBC45000 6E000012
	ds_read_b64_tr_b8 a[112:113], v19 offset:2048              // 000000008BAC: DBC40800 70000013
	ds_read_b64_tr_b8 a[114:115], v20 offset:2048              // 000000008BB4: DBC40800 72000014
	ds_read_b64_tr_b8 a[116:117], v19 offset:20480             // 000000008BBC: DBC45000 74000013
	ds_read_b64_tr_b8 a[118:119], v20 offset:20480             // 000000008BC4: DBC45000 76000014
	ds_read_b64_tr_b8 a[120:121], v17 offset:3072              // 000000008BCC: DBC40C00 78000011
	ds_read_b64_tr_b8 a[122:123], v18 offset:3072              // 000000008BD4: DBC40C00 7A000012
	ds_read_b64_tr_b8 a[124:125], v17 offset:21504             // 000000008BDC: DBC45400 7C000011
	ds_read_b64_tr_b8 a[126:127], v18 offset:21504             // 000000008BE4: DBC45400 7E000012
	ds_read_b64_tr_b8 a[128:129], v19 offset:3072              // 000000008BEC: DBC40C00 80000013
	ds_read_b64_tr_b8 a[130:131], v20 offset:3072              // 000000008BF4: DBC40C00 82000014
	ds_read_b64_tr_b8 a[132:133], v19 offset:21504             // 000000008BFC: DBC45400 84000013
	ds_read_b64_tr_b8 a[134:135], v20 offset:21504             // 000000008C04: DBC45400 86000014
	s_waitcnt lgkmcnt(4)                                       // 000000008C0C: BF8CC47F
	v_mfma_f32_32x32x64_f8f6f4 v[76:91], a[72:79], v[44:51], v[76:91]// 000000008C10: D3AE004C 0D325948
	ds_read_b64_tr_b8 a[72:73], v5                             // 000000008C18: DBC40000 48000005
	ds_read_b64_tr_b8 a[74:75], v6                             // 000000008C20: DBC40000 4A000006
	ds_read_b64_tr_b8 a[76:77], v5 offset:18432                // 000000008C28: DBC44800 4C000005
	ds_read_b64_tr_b8 a[78:79], v6 offset:18432                // 000000008C30: DBC44800 4E000006
	v_mfma_f32_32x32x64_f8f6f4 v[92:107], a[80:87], v[44:51], v[92:107]// 000000008C38: D3AE005C 0D725950
	ds_read_b64_tr_b8 a[80:81], v7                             // 000000008C40: DBC40000 50000007
	ds_read_b64_tr_b8 a[82:83], v8                             // 000000008C48: DBC40000 52000008
	ds_read_b64_tr_b8 a[84:85], v7 offset:18432                // 000000008C50: DBC44800 54000007
	ds_read_b64_tr_b8 a[86:87], v8 offset:18432                // 000000008C58: DBC44800 56000008
	v_mfma_f32_32x32x64_f8f6f4 v[108:123], a[88:95], v[44:51], v[108:123]// 000000008C60: D3AE006C 0DB25958
	ds_read_b64_tr_b8 a[88:89], v5 offset:1024                 // 000000008C68: DBC40400 58000005
	ds_read_b64_tr_b8 a[90:91], v6 offset:1024                 // 000000008C70: DBC40400 5A000006
	ds_read_b64_tr_b8 a[92:93], v5 offset:19456                // 000000008C78: DBC44C00 5C000005
	ds_read_b64_tr_b8 a[94:95], v6 offset:19456                // 000000008C80: DBC44C00 5E000006
	v_mfma_f32_32x32x64_f8f6f4 v[124:139], a[96:103], v[44:51], v[124:139]// 000000008C88: D3AE007C 0DF25960
	ds_read_b64_tr_b8 a[96:97], v7 offset:1024                 // 000000008C90: DBC40400 60000007
	ds_read_b64_tr_b8 a[98:99], v8 offset:1024                 // 000000008C98: DBC40400 62000008
	ds_read_b64_tr_b8 a[100:101], v7 offset:19456              // 000000008CA0: DBC44C00 64000007
	ds_read_b64_tr_b8 a[102:103], v8 offset:19456              // 000000008CA8: DBC44C00 66000008
	v_mfma_f32_32x32x64_f8f6f4 v[140:155], a[104:111], v[44:51], v[140:155]// 000000008CB0: D3AE008C 0E325968
	ds_read_b64_tr_b8 a[104:105], v5 offset:2048               // 000000008CB8: DBC40800 68000005
	ds_read_b64_tr_b8 a[106:107], v6 offset:2048               // 000000008CC0: DBC40800 6A000006
	ds_read_b64_tr_b8 a[108:109], v5 offset:20480              // 000000008CC8: DBC45000 6C000005
	ds_read_b64_tr_b8 a[110:111], v6 offset:20480              // 000000008CD0: DBC45000 6E000006
	v_mfma_f32_32x32x64_f8f6f4 v[156:171], a[112:119], v[44:51], v[156:171]// 000000008CD8: D3AE009C 0E725970
	ds_read_b64_tr_b8 a[112:113], v7 offset:2048               // 000000008CE0: DBC40800 70000007
	ds_read_b64_tr_b8 a[114:115], v8 offset:2048               // 000000008CE8: DBC40800 72000008
	ds_read_b64_tr_b8 a[116:117], v7 offset:20480              // 000000008CF0: DBC45000 74000007
	ds_read_b64_tr_b8 a[118:119], v8 offset:20480              // 000000008CF8: DBC45000 76000008
	v_mfma_f32_32x32x64_f8f6f4 v[172:187], a[120:127], v[44:51], v[172:187]// 000000008D00: D3AE00AC 0EB25978
	ds_read_b64_tr_b8 a[120:121], v5 offset:3072               // 000000008D08: DBC40C00 78000005
	ds_read_b64_tr_b8 a[122:123], v6 offset:3072               // 000000008D10: DBC40C00 7A000006
	ds_read_b64_tr_b8 a[124:125], v5 offset:21504              // 000000008D18: DBC45400 7C000005
	ds_read_b64_tr_b8 a[126:127], v6 offset:21504              // 000000008D20: DBC45400 7E000006
	v_mfma_f32_32x32x64_f8f6f4 v[188:203], a[128:135], v[44:51], v[188:203]// 000000008D28: D3AE00BC 0EF25980
	ds_read_b64_tr_b8 a[128:129], v7 offset:3072               // 000000008D30: DBC40C00 80000007
	ds_read_b64_tr_b8 a[130:131], v8 offset:3072               // 000000008D38: DBC40C00 82000008
	ds_read_b64_tr_b8 a[132:133], v7 offset:21504              // 000000008D40: DBC45400 84000007
	ds_read_b64_tr_b8 a[134:135], v8 offset:21504              // 000000008D48: DBC45400 86000008
	v_mov_b32_e32 v36, v21                                     // 000000008D50: 7E480315
	v_mov_b32_e32 v37, v21                                     // 000000008D54: 7E4A0315
	v_pk_mul_f32 v[76:77], v[36:37], v[76:77]                  // 000000008D58: D3B1404C 18029924
	v_pk_mul_f32 v[78:79], v[36:37], v[78:79]                  // 000000008D60: D3B1404E 18029D24
	v_pk_mul_f32 v[80:81], v[36:37], v[80:81]                  // 000000008D68: D3B14050 1802A124
	v_pk_mul_f32 v[82:83], v[36:37], v[82:83]                  // 000000008D70: D3B14052 1802A524
	v_pk_mul_f32 v[84:85], v[36:37], v[84:85]                  // 000000008D78: D3B14054 1802A924
	v_pk_mul_f32 v[86:87], v[36:37], v[86:87]                  // 000000008D80: D3B14056 1802AD24
	v_pk_mul_f32 v[88:89], v[36:37], v[88:89]                  // 000000008D88: D3B14058 1802B124
	v_pk_mul_f32 v[90:91], v[36:37], v[90:91]                  // 000000008D90: D3B1405A 1802B524
	v_pk_mul_f32 v[92:93], v[36:37], v[92:93]                  // 000000008D98: D3B1405C 1802B924
	v_pk_mul_f32 v[94:95], v[36:37], v[94:95]                  // 000000008DA0: D3B1405E 1802BD24
	v_pk_mul_f32 v[96:97], v[36:37], v[96:97]                  // 000000008DA8: D3B14060 1802C124
	v_pk_mul_f32 v[98:99], v[36:37], v[98:99]                  // 000000008DB0: D3B14062 1802C524
	v_pk_mul_f32 v[100:101], v[36:37], v[100:101]              // 000000008DB8: D3B14064 1802C924
	v_pk_mul_f32 v[102:103], v[36:37], v[102:103]              // 000000008DC0: D3B14066 1802CD24
	v_pk_mul_f32 v[104:105], v[36:37], v[104:105]              // 000000008DC8: D3B14068 1802D124
	v_pk_mul_f32 v[106:107], v[36:37], v[106:107]              // 000000008DD0: D3B1406A 1802D524
	v_pk_mul_f32 v[108:109], v[36:37], v[108:109]              // 000000008DD8: D3B1406C 1802D924
	v_pk_mul_f32 v[110:111], v[36:37], v[110:111]              // 000000008DE0: D3B1406E 1802DD24
	v_pk_mul_f32 v[112:113], v[36:37], v[112:113]              // 000000008DE8: D3B14070 1802E124
	v_pk_mul_f32 v[114:115], v[36:37], v[114:115]              // 000000008DF0: D3B14072 1802E524
	v_pk_mul_f32 v[116:117], v[36:37], v[116:117]              // 000000008DF8: D3B14074 1802E924
	v_pk_mul_f32 v[118:119], v[36:37], v[118:119]              // 000000008E00: D3B14076 1802ED24
	v_pk_mul_f32 v[120:121], v[36:37], v[120:121]              // 000000008E08: D3B14078 1802F124
	v_pk_mul_f32 v[122:123], v[36:37], v[122:123]              // 000000008E10: D3B1407A 1802F524
	v_pk_mul_f32 v[124:125], v[36:37], v[124:125]              // 000000008E18: D3B1407C 1802F924
	v_pk_mul_f32 v[126:127], v[36:37], v[126:127]              // 000000008E20: D3B1407E 1802FD24
	v_pk_mul_f32 v[128:129], v[36:37], v[128:129]              // 000000008E28: D3B14080 18030124
	v_pk_mul_f32 v[130:131], v[36:37], v[130:131]              // 000000008E30: D3B14082 18030524
	v_pk_mul_f32 v[132:133], v[36:37], v[132:133]              // 000000008E38: D3B14084 18030924
	v_pk_mul_f32 v[134:135], v[36:37], v[134:135]              // 000000008E40: D3B14086 18030D24
	v_pk_mul_f32 v[136:137], v[36:37], v[136:137]              // 000000008E48: D3B14088 18031124
	v_pk_mul_f32 v[138:139], v[36:37], v[138:139]              // 000000008E50: D3B1408A 18031524
	v_pk_mul_f32 v[140:141], v[36:37], v[140:141]              // 000000008E58: D3B1408C 18031924
	v_pk_mul_f32 v[142:143], v[36:37], v[142:143]              // 000000008E60: D3B1408E 18031D24
	v_pk_mul_f32 v[144:145], v[36:37], v[144:145]              // 000000008E68: D3B14090 18032124
	v_pk_mul_f32 v[146:147], v[36:37], v[146:147]              // 000000008E70: D3B14092 18032524
	v_pk_mul_f32 v[148:149], v[36:37], v[148:149]              // 000000008E78: D3B14094 18032924
	v_pk_mul_f32 v[150:151], v[36:37], v[150:151]              // 000000008E80: D3B14096 18032D24
	v_pk_mul_f32 v[152:153], v[36:37], v[152:153]              // 000000008E88: D3B14098 18033124
	v_pk_mul_f32 v[154:155], v[36:37], v[154:155]              // 000000008E90: D3B1409A 18033524
	v_pk_mul_f32 v[156:157], v[36:37], v[156:157]              // 000000008E98: D3B1409C 18033924
	v_pk_mul_f32 v[158:159], v[36:37], v[158:159]              // 000000008EA0: D3B1409E 18033D24
	v_pk_mul_f32 v[160:161], v[36:37], v[160:161]              // 000000008EA8: D3B140A0 18034124
	v_pk_mul_f32 v[162:163], v[36:37], v[162:163]              // 000000008EB0: D3B140A2 18034524
	v_pk_mul_f32 v[164:165], v[36:37], v[164:165]              // 000000008EB8: D3B140A4 18034924
	v_pk_mul_f32 v[166:167], v[36:37], v[166:167]              // 000000008EC0: D3B140A6 18034D24
	v_pk_mul_f32 v[168:169], v[36:37], v[168:169]              // 000000008EC8: D3B140A8 18035124
	v_pk_mul_f32 v[170:171], v[36:37], v[170:171]              // 000000008ED0: D3B140AA 18035524
	v_pk_mul_f32 v[172:173], v[36:37], v[172:173]              // 000000008ED8: D3B140AC 18035924
	v_pk_mul_f32 v[174:175], v[36:37], v[174:175]              // 000000008EE0: D3B140AE 18035D24
	v_pk_mul_f32 v[176:177], v[36:37], v[176:177]              // 000000008EE8: D3B140B0 18036124
	v_pk_mul_f32 v[178:179], v[36:37], v[178:179]              // 000000008EF0: D3B140B2 18036524
	v_pk_mul_f32 v[180:181], v[36:37], v[180:181]              // 000000008EF8: D3B140B4 18036924
	v_pk_mul_f32 v[182:183], v[36:37], v[182:183]              // 000000008F00: D3B140B6 18036D24
	v_pk_mul_f32 v[184:185], v[36:37], v[184:185]              // 000000008F08: D3B140B8 18037124
	v_pk_mul_f32 v[186:187], v[36:37], v[186:187]              // 000000008F10: D3B140BA 18037524
	v_pk_mul_f32 v[188:189], v[36:37], v[188:189]              // 000000008F18: D3B140BC 18037924
	v_pk_mul_f32 v[190:191], v[36:37], v[190:191]              // 000000008F20: D3B140BE 18037D24
	v_pk_mul_f32 v[192:193], v[36:37], v[192:193]              // 000000008F28: D3B140C0 18038124
	v_pk_mul_f32 v[194:195], v[36:37], v[194:195]              // 000000008F30: D3B140C2 18038524
	v_pk_mul_f32 v[196:197], v[36:37], v[196:197]              // 000000008F38: D3B140C4 18038924
	v_pk_mul_f32 v[198:199], v[36:37], v[198:199]              // 000000008F40: D3B140C6 18038D24
	v_pk_mul_f32 v[200:201], v[36:37], v[200:201]              // 000000008F48: D3B140C8 18039124
	v_pk_mul_f32 v[202:203], v[36:37], v[202:203]              // 000000008F50: D3B140CA 18039524
	s_waitcnt vmcnt(0)                                         // 000000008F58: BF8C0F70
	s_barrier                                                  // 000000008F5C: BF8A0000
	v_mfma_f32_32x32x64_f8f6f4 v[76:91], a[72:79], v[60:67], v[76:91]// 000000008F60: D3AE004C 0D327948
	ds_read_b128 a[72:75], v24                                 // 000000008F68: DBFE0000 48000018
	ds_read_b128 a[76:79], v25                                 // 000000008F70: DBFE0000 4C000019
	v_mfma_f32_32x32x64_f8f6f4 v[92:107], a[80:87], v[60:67], v[92:107]// 000000008F78: D3AE005C 0D727950
	ds_read_b128 a[80:83], v24 offset:1024                     // 000000008F80: DBFE0400 50000018
	ds_read_b128 a[84:87], v25 offset:1024                     // 000000008F88: DBFE0400 54000019
	v_mfma_f32_32x32x64_f8f6f4 v[108:123], a[88:95], v[60:67], v[108:123]// 000000008F90: D3AE006C 0DB27958
	ds_read_b128 a[88:91], v24 offset:2048                     // 000000008F98: DBFE0800 58000018
	ds_read_b128 a[92:95], v25 offset:2048                     // 000000008FA0: DBFE0800 5C000019
	v_mfma_f32_32x32x64_f8f6f4 v[124:139], a[96:103], v[60:67], v[124:139]// 000000008FA8: D3AE007C 0DF27960
	ds_read_b128 a[96:99], v24 offset:3072                     // 000000008FB0: DBFE0C00 60000018
	ds_read_b128 a[100:103], v25 offset:3072                   // 000000008FB8: DBFE0C00 64000019
	v_mfma_f32_32x32x64_f8f6f4 v[140:155], a[104:111], v[60:67], v[140:155]// 000000008FC0: D3AE008C 0E327968
	ds_read_b128 a[104:107], v24 offset:4096                   // 000000008FC8: DBFE1000 68000018
	ds_read_b128 a[108:111], v25 offset:4096                   // 000000008FD0: DBFE1000 6C000019
	v_mfma_f32_32x32x64_f8f6f4 v[156:171], a[112:119], v[60:67], v[156:171]// 000000008FD8: D3AE009C 0E727970
	ds_read_b128 a[112:115], v24 offset:5120                   // 000000008FE0: DBFE1400 70000018
	ds_read_b128 a[116:119], v25 offset:5120                   // 000000008FE8: DBFE1400 74000019
	v_mfma_f32_32x32x64_f8f6f4 v[172:187], a[120:127], v[60:67], v[172:187]// 000000008FF0: D3AE00AC 0EB27978
	ds_read_b128 a[120:123], v24 offset:6144                   // 000000008FF8: DBFE1800 78000018
	ds_read_b128 a[124:127], v25 offset:6144                   // 000000009000: DBFE1800 7C000019
	v_mfma_f32_32x32x64_f8f6f4 v[188:203], a[128:135], v[60:67], v[188:203]// 000000009008: D3AE00BC 0EF27980
	ds_read_b128 a[128:131], v24 offset:7168                   // 000000009010: DBFE1C00 80000018
	ds_read_b128 a[132:135], v25 offset:7168                   // 000000009018: DBFE1C00 84000019
	ds_read_b128 a[136:139], v24 offset:8192                   // 000000009020: DBFE2000 88000018
	ds_read_b128 a[140:143], v25 offset:8192                   // 000000009028: DBFE2000 8C000019
	s_branch label_6C34                                        // 000000009030: BF820000

0000000000009034 <label_6C34>:
	s_cmp_eq_i32 s48, 0                                        // 000000009034: BF008030
	s_cbranch_scc1 label_8AD0                                  // 000000009038: BF8507A5

000000000000903c <label_6C3C>:
	s_and_b32 s56, 3, s71                                      // 00000000903C: 86384783
	s_cmp_eq_i32 s56, 1                                        // 000000009040: BF008138
	s_cbranch_scc1 label_6C60                                  // 000000009044: BF850006
	s_cmp_eq_i32 s56, 2                                        // 000000009048: BF008238
	s_cbranch_scc1 label_73FC                                  // 00000000904C: BF8501EB
	s_cmp_eq_i32 s56, 3                                        // 000000009050: BF008338
	s_cbranch_scc1 label_7B98                                  // 000000009054: BF8503D0
	s_cmp_eq_i32 s56, 0                                        // 000000009058: BF008038
	s_cbranch_scc1 label_8334                                  // 00000000905C: BF8505B5

0000000000009060 <label_6C60>:
	s_waitcnt lgkmcnt(4)                                       // 000000009060: BF8CC47F
	v_mfma_f32_32x32x64_f8f6f4 v[60:75], a[72:79], a[0:7], 0   // 000000009064: D3AE003C 1A020148
	v_mfma_f32_32x32x64_f8f6f4 v[60:75], a[80:87], a[8:15], v[60:75]// 00000000906C: D3AE003C 1CF21150
	v_mfma_f32_32x32x64_f8f6f4 v[60:75], a[88:95], a[16:23], v[60:75]// 000000009074: D3AE003C 1CF22158
	ds_read_b64_tr_b8 a[72:73], v13                            // 00000000907C: DBC40000 4800000D
	ds_read_b64_tr_b8 a[74:75], v14                            // 000000009084: DBC40000 4A00000E
	ds_read_b64_tr_b8 a[76:77], v13 offset:18432               // 00000000908C: DBC44800 4C00000D
	ds_read_b64_tr_b8 a[78:79], v14 offset:18432               // 000000009094: DBC44800 4E00000E
	v_mfma_f32_32x32x64_f8f6f4 v[60:75], a[96:103], a[24:31], v[60:75]// 00000000909C: D3AE003C 1CF23160
	ds_read_b64_tr_b8 a[80:81], v15                            // 0000000090A4: DBC40000 5000000F
	ds_read_b64_tr_b8 a[82:83], v16                            // 0000000090AC: DBC40000 52000010
	ds_read_b64_tr_b8 a[84:85], v15 offset:18432               // 0000000090B4: DBC44800 5400000F
	ds_read_b64_tr_b8 a[86:87], v16 offset:18432               // 0000000090BC: DBC44800 56000010
	v_mfma_f32_32x32x64_f8f6f4 v[60:75], a[104:111], a[32:39], v[60:75]// 0000000090C4: D3AE003C 1CF24168
	ds_read_b64_tr_b8 a[88:89], v13 offset:1024                // 0000000090CC: DBC40400 5800000D
	ds_read_b64_tr_b8 a[90:91], v14 offset:1024                // 0000000090D4: DBC40400 5A00000E
	ds_read_b64_tr_b8 a[92:93], v13 offset:19456               // 0000000090DC: DBC44C00 5C00000D
	ds_read_b64_tr_b8 a[94:95], v14 offset:19456               // 0000000090E4: DBC44C00 5E00000E
	v_mfma_f32_32x32x64_f8f6f4 v[60:75], a[112:119], a[40:47], v[60:75]// 0000000090EC: D3AE003C 1CF25170
	ds_read_b64_tr_b8 a[96:97], v15 offset:1024                // 0000000090F4: DBC40400 6000000F
	ds_read_b64_tr_b8 a[98:99], v16 offset:1024                // 0000000090FC: DBC40400 62000010
	ds_read_b64_tr_b8 a[100:101], v15 offset:19456             // 000000009104: DBC44C00 6400000F
	ds_read_b64_tr_b8 a[102:103], v16 offset:19456             // 00000000910C: DBC44C00 66000010
	v_mfma_f32_32x32x64_f8f6f4 v[60:75], a[120:127], a[48:55], v[60:75]// 000000009114: D3AE003C 1CF26178
	ds_read_b64_tr_b8 a[104:105], v13 offset:2048              // 00000000911C: DBC40800 6800000D
	ds_read_b64_tr_b8 a[106:107], v14 offset:2048              // 000000009124: DBC40800 6A00000E
	ds_read_b64_tr_b8 a[108:109], v13 offset:20480             // 00000000912C: DBC45000 6C00000D
	ds_read_b64_tr_b8 a[110:111], v14 offset:20480             // 000000009134: DBC45000 6E00000E
	v_mfma_f32_32x32x64_f8f6f4 v[60:75], a[128:135], a[56:63], v[60:75]// 00000000913C: D3AE003C 1CF27180
	ds_read_b64_tr_b8 a[112:113], v15 offset:2048              // 000000009144: DBC40800 7000000F
	ds_read_b64_tr_b8 a[114:115], v16 offset:2048              // 00000000914C: DBC40800 72000010
	ds_read_b64_tr_b8 a[116:117], v15 offset:20480             // 000000009154: DBC45000 7400000F
	ds_read_b64_tr_b8 a[118:119], v16 offset:20480             // 00000000915C: DBC45000 76000010
	v_mfma_f32_32x32x64_f8f6f4 v[60:75], a[136:143], a[64:71], v[60:75]// 000000009164: D3AE003C 1CF28188
	ds_read_b64_tr_b8 a[120:121], v13 offset:3072              // 00000000916C: DBC40C00 7800000D
	ds_read_b64_tr_b8 a[122:123], v14 offset:3072              // 000000009174: DBC40C00 7A00000E
	ds_read_b64_tr_b8 a[124:125], v13 offset:21504             // 00000000917C: DBC45400 7C00000D
	ds_read_b64_tr_b8 a[126:127], v14 offset:21504             // 000000009184: DBC45400 7E00000E
	ds_read_b64_tr_b8 a[128:129], v15 offset:3072              // 00000000918C: DBC40C00 8000000F
	ds_read_b64_tr_b8 a[130:131], v16 offset:3072              // 000000009194: DBC40C00 82000010
	ds_read_b64_tr_b8 a[132:133], v15 offset:21504             // 00000000919C: DBC45400 8400000F
	ds_read_b64_tr_b8 a[134:135], v16 offset:21504             // 0000000091A4: DBC45400 86000010
	s_and_b32 s56, s48, 0xff                                   // 0000000091AC: 8638FF30 000000FF
	v_mov_b32_e32 v36, s56                                     // 0000000091B4: 7E480238
	v_lshrrev_b32_e32 v204, 5, v0                              // 0000000091B8: 21980085
	v_mul_i32_i24_e32 v204, 4, v204                            // 0000000091BC: 0D999884
	s_and_b32 s56, s7, 1                                       // 0000000091C0: 86388107
	s_mov_b32 s57, 32                                          // 0000000091C4: BEB900A0
	s_mul_i32 s56, s57, s56                                    // 0000000091C8: 92383839
	v_add_u32_e32 v204, s56, v204                              // 0000000091CC: 69999838
	v_add_u32_e32 v205, 1, v204                                // 0000000091D0: 699B9881
	v_add_u32_e32 v206, 2, v204                                // 0000000091D4: 699D9882
	v_add_u32_e32 v207, 3, v204                                // 0000000091D8: 699F9883
	v_mov_b32_e32 v35, 0xff800000                              // 0000000091DC: 7E4602FF FF800000
	v_cmp_lt_u32_e64 s[36:37], v204, v36                       // 0000000091E4: D0C90024 000249CC
	v_add_u32_e32 v204, 8, v204                                // 0000000091EC: 69999888
	s_nop 0                                                    // 0000000091F0: BF800000
	v_cndmask_b32_e64 v60, v35, v60, s[36:37]                  // 0000000091F4: D100003C 00927923
	v_cmp_lt_u32_e64 s[36:37], v205, v36                       // 0000000091FC: D0C90024 000249CD
	v_add_u32_e32 v205, 8, v205                                // 000000009204: 699B9A88
	s_nop 0                                                    // 000000009208: BF800000
	v_cndmask_b32_e64 v61, v35, v61, s[36:37]                  // 00000000920C: D100003D 00927B23
	v_cmp_lt_u32_e64 s[36:37], v206, v36                       // 000000009214: D0C90024 000249CE
	v_add_u32_e32 v206, 8, v206                                // 00000000921C: 699D9C88
	s_nop 0                                                    // 000000009220: BF800000
	v_cndmask_b32_e64 v62, v35, v62, s[36:37]                  // 000000009224: D100003E 00927D23
	v_cmp_lt_u32_e64 s[36:37], v207, v36                       // 00000000922C: D0C90024 000249CF
	v_add_u32_e32 v207, 8, v207                                // 000000009234: 699F9E88
	s_nop 0                                                    // 000000009238: BF800000
	v_cndmask_b32_e64 v63, v35, v63, s[36:37]                  // 00000000923C: D100003F 00927F23
	v_cmp_lt_u32_e64 s[36:37], v204, v36                       // 000000009244: D0C90024 000249CC
	v_add_u32_e32 v204, 8, v204                                // 00000000924C: 69999888
	s_nop 0                                                    // 000000009250: BF800000
	v_cndmask_b32_e64 v64, v35, v64, s[36:37]                  // 000000009254: D1000040 00928123
	v_cmp_lt_u32_e64 s[36:37], v205, v36                       // 00000000925C: D0C90024 000249CD
	v_add_u32_e32 v205, 8, v205                                // 000000009264: 699B9A88
	s_nop 0                                                    // 000000009268: BF800000
	v_cndmask_b32_e64 v65, v35, v65, s[36:37]                  // 00000000926C: D1000041 00928323
	v_cmp_lt_u32_e64 s[36:37], v206, v36                       // 000000009274: D0C90024 000249CE
	v_add_u32_e32 v206, 8, v206                                // 00000000927C: 699D9C88
	s_nop 0                                                    // 000000009280: BF800000
	v_cndmask_b32_e64 v66, v35, v66, s[36:37]                  // 000000009284: D1000042 00928523
	v_cmp_lt_u32_e64 s[36:37], v207, v36                       // 00000000928C: D0C90024 000249CF
	v_add_u32_e32 v207, 8, v207                                // 000000009294: 699F9E88
	s_nop 0                                                    // 000000009298: BF800000
	v_cndmask_b32_e64 v67, v35, v67, s[36:37]                  // 00000000929C: D1000043 00928723
	v_cmp_lt_u32_e64 s[36:37], v204, v36                       // 0000000092A4: D0C90024 000249CC
	v_add_u32_e32 v204, 8, v204                                // 0000000092AC: 69999888
	s_nop 0                                                    // 0000000092B0: BF800000
	v_cndmask_b32_e64 v68, v35, v68, s[36:37]                  // 0000000092B4: D1000044 00928923
	v_cmp_lt_u32_e64 s[36:37], v205, v36                       // 0000000092BC: D0C90024 000249CD
	v_add_u32_e32 v205, 8, v205                                // 0000000092C4: 699B9A88
	s_nop 0                                                    // 0000000092C8: BF800000
	v_cndmask_b32_e64 v69, v35, v69, s[36:37]                  // 0000000092CC: D1000045 00928B23
	v_cmp_lt_u32_e64 s[36:37], v206, v36                       // 0000000092D4: D0C90024 000249CE
	v_add_u32_e32 v206, 8, v206                                // 0000000092DC: 699D9C88
	s_nop 0                                                    // 0000000092E0: BF800000
	v_cndmask_b32_e64 v70, v35, v70, s[36:37]                  // 0000000092E4: D1000046 00928D23
	v_cmp_lt_u32_e64 s[36:37], v207, v36                       // 0000000092EC: D0C90024 000249CF
	v_add_u32_e32 v207, 8, v207                                // 0000000092F4: 699F9E88
	s_nop 0                                                    // 0000000092F8: BF800000
	v_cndmask_b32_e64 v71, v35, v71, s[36:37]                  // 0000000092FC: D1000047 00928F23
	v_cmp_lt_u32_e64 s[36:37], v204, v36                       // 000000009304: D0C90024 000249CC
	v_add_u32_e32 v204, 8, v204                                // 00000000930C: 69999888
	s_nop 0                                                    // 000000009310: BF800000
	v_cndmask_b32_e64 v72, v35, v72, s[36:37]                  // 000000009314: D1000048 00929123
	v_cmp_lt_u32_e64 s[36:37], v205, v36                       // 00000000931C: D0C90024 000249CD
	v_add_u32_e32 v205, 8, v205                                // 000000009324: 699B9A88
	s_nop 0                                                    // 000000009328: BF800000
	v_cndmask_b32_e64 v73, v35, v73, s[36:37]                  // 00000000932C: D1000049 00929323
	v_cmp_lt_u32_e64 s[36:37], v206, v36                       // 000000009334: D0C90024 000249CE
	v_add_u32_e32 v206, 8, v206                                // 00000000933C: 699D9C88
	s_nop 0                                                    // 000000009340: BF800000
	v_cndmask_b32_e64 v74, v35, v74, s[36:37]                  // 000000009344: D100004A 00929523
	v_cmp_lt_u32_e64 s[36:37], v207, v36                       // 00000000934C: D0C90024 000249CF
	v_add_u32_e32 v207, 8, v207                                // 000000009354: 699F9E88
	s_nop 0                                                    // 000000009358: BF800000
	v_cndmask_b32_e64 v75, v35, v75, s[36:37]                  // 00000000935C: D100004B 00929723
	s_nop 2                                                    // 000000009364: BF800002
	v_mov_b32_e32 v213, v60                                    // 000000009368: 7FAA033C
	v_max3_f32 v213, v60, v61, v213                            // 00000000936C: D1D300D5 07567B3C
	v_max3_f32 v213, v62, v63, v213                            // 000000009374: D1D300D5 07567F3E
	v_max3_f32 v213, v64, v65, v213                            // 00000000937C: D1D300D5 07568340
	v_max3_f32 v213, v66, v67, v213                            // 000000009384: D1D300D5 07568742
	v_max3_f32 v213, v68, v69, v213                            // 00000000938C: D1D300D5 07568B44
	v_max3_f32 v213, v70, v71, v213                            // 000000009394: D1D300D5 07568F46
	v_max3_f32 v213, v72, v73, v213                            // 00000000939C: D1D300D5 07569348
	v_max3_f32 v213, v74, v75, v213                            // 0000000093A4: D1D300D5 0756974A
	v_mov_b32_e32 v35, v213                                    // 0000000093AC: 7E4603D5
	v_mov_b32_e32 v36, v213                                    // 0000000093B0: 7E4803D5
	s_nop 1                                                    // 0000000093B4: BF800001
	v_permlane32_swap_b32_e32 v35, v36                         // 0000000093B8: 7E46B524
	v_max3_f32 v213, v35, v36, v213                            // 0000000093BC: D1D300D5 07564923
	ds_write_b32 v41, v213                                     // 0000000093C4: D81A0000 0000D529
	s_waitcnt lgkmcnt(0)                                       // 0000000093CC: BF8CC07F
	s_barrier                                                  // 0000000093D0: BF8A0000
	ds_read_b32 v35, v40                                       // 0000000093D4: D86C0000 23000028
	ds_read_b32 v36, v40 offset:256                            // 0000000093DC: D86C0100 24000028
	s_waitcnt lgkmcnt(0)                                       // 0000000093E4: BF8CC07F
	v_max3_f32 v213, v35, v36, v213                            // 0000000093E8: D1D300D5 07564923
	v_mov_b32_e32 v35, 0xff800000                              // 0000000093F0: 7E4602FF FF800000
	v_cmp_eq_u32_e64 s[36:37], v35, v2                         // 0000000093F8: D0CA0024 00020523
	v_max_f32_e32 v216, v213, v2                               // 000000009400: 17B005D5
	v_sub_f32_e32 v21, v2, v216                                // 000000009404: 042BB102
	v_cndmask_b32_e64 v21, v21, 0, s[36:37]                    // 000000009408: D1000015 00910115
	v_mov_b32_e32 v2, v216                                     // 000000009410: 7E0403D8
	v_mul_f32_e32 v212, s5, v216                               // 000000009414: 0BA9B005
	v_mul_f32_e32 v21, s5, v21                                 // 000000009418: 0A2A2A05
	v_exp_f32_e32 v21, v21                                     // 00000000941C: 7E2A4115
	v_fma_f32 v60, v60, s5, -v212                              // 000000009420: D1CB003C 87500B3C
	v_fma_f32 v61, v61, s5, -v212                              // 000000009428: D1CB003D 87500B3D
	v_fma_f32 v62, v62, s5, -v212                              // 000000009430: D1CB003E 87500B3E
	v_fma_f32 v63, v63, s5, -v212                              // 000000009438: D1CB003F 87500B3F
	v_fma_f32 v64, v64, s5, -v212                              // 000000009440: D1CB0040 87500B40
	v_fma_f32 v65, v65, s5, -v212                              // 000000009448: D1CB0041 87500B41
	v_fma_f32 v66, v66, s5, -v212                              // 000000009450: D1CB0042 87500B42
	v_fma_f32 v67, v67, s5, -v212                              // 000000009458: D1CB0043 87500B43
	v_fma_f32 v68, v68, s5, -v212                              // 000000009460: D1CB0044 87500B44
	v_fma_f32 v69, v69, s5, -v212                              // 000000009468: D1CB0045 87500B45
	v_fma_f32 v70, v70, s5, -v212                              // 000000009470: D1CB0046 87500B46
	v_fma_f32 v71, v71, s5, -v212                              // 000000009478: D1CB0047 87500B47
	v_fma_f32 v72, v72, s5, -v212                              // 000000009480: D1CB0048 87500B48
	v_fma_f32 v73, v73, s5, -v212                              // 000000009488: D1CB0049 87500B49
	v_fma_f32 v74, v74, s5, -v212                              // 000000009490: D1CB004A 87500B4A
	v_fma_f32 v75, v75, s5, -v212                              // 000000009498: D1CB004B 87500B4B
	v_mov_b32_e32 v35, 0xffc00000                              // 0000000094A0: 7E4602FF FFC00000
	v_exp_f32_e32 v60, v60                                     // 0000000094A8: 7E78413C
	v_exp_f32_e32 v61, v61                                     // 0000000094AC: 7E7A413D
	v_exp_f32_e32 v62, v62                                     // 0000000094B0: 7E7C413E
	v_exp_f32_e32 v63, v63                                     // 0000000094B4: 7E7E413F
	v_exp_f32_e32 v64, v64                                     // 0000000094B8: 7E804140
	v_exp_f32_e32 v65, v65                                     // 0000000094BC: 7E824141
	v_exp_f32_e32 v66, v66                                     // 0000000094C0: 7E844142
	v_exp_f32_e32 v67, v67                                     // 0000000094C4: 7E864143
	v_exp_f32_e32 v68, v68                                     // 0000000094C8: 7E884144
	v_exp_f32_e32 v69, v69                                     // 0000000094CC: 7E8A4145
	v_exp_f32_e32 v70, v70                                     // 0000000094D0: 7E8C4146
	v_exp_f32_e32 v71, v71                                     // 0000000094D4: 7E8E4147
	v_exp_f32_e32 v72, v72                                     // 0000000094D8: 7E904148
	v_exp_f32_e32 v73, v73                                     // 0000000094DC: 7E924149
	v_exp_f32_e32 v74, v74                                     // 0000000094E0: 7E94414A
	v_exp_f32_e32 v75, v75                                     // 0000000094E4: 7E96414B
	v_mul_f32_e32 v4, v21, v4                                  // 0000000094E8: 0A080915
	v_mov_b32_e32 v35, v60                                     // 0000000094EC: 7E46033C
	v_add_f32_e32 v35, v61, v35                                // 0000000094F0: 0246473D
	v_add_f32_e32 v35, v62, v35                                // 0000000094F4: 0246473E
	v_add_f32_e32 v35, v63, v35                                // 0000000094F8: 0246473F
	v_add_f32_e32 v35, v64, v35                                // 0000000094FC: 02464740
	v_add_f32_e32 v35, v65, v35                                // 000000009500: 02464741
	v_add_f32_e32 v35, v66, v35                                // 000000009504: 02464742
	;; [unrolled: 1-line block ×3, first 2 shown]
	v_add_f32_e32 v35, v68, v35                                // 00000000950C: 02464744
	v_add_f32_e32 v35, v69, v35                                // 000000009510: 02464745
	v_add_f32_e32 v35, v70, v35                                // 000000009514: 02464746
	;; [unrolled: 1-line block ×3, first 2 shown]
	v_add_f32_e32 v35, v72, v35                                // 00000000951C: 02464748
	v_add_f32_e32 v35, v73, v35                                // 000000009520: 02464749
	v_add_f32_e32 v35, v74, v35                                // 000000009524: 0246474A
	v_add_f32_e32 v35, v75, v35                                // 000000009528: 0246474B
	v_add_f32_e32 v4, v35, v4                                  // 00000000952C: 02080923
	v_cvt_pk_fp8_f32 v60, v60, v61                             // 000000009530: D2A2003C 00027B3C
	v_cvt_pk_fp8_f32 v60, v62, v63 op_sel:[0,0,1]              // 000000009538: D2A2403C 00027F3E
	v_cvt_pk_fp8_f32 v61, v64, v65                             // 000000009540: D2A2003D 00028340
	v_cvt_pk_fp8_f32 v61, v66, v67 op_sel:[0,0,1]              // 000000009548: D2A2403D 00028742
	v_cvt_pk_fp8_f32 v62, v68, v69                             // 000000009550: D2A2003E 00028B44
	v_cvt_pk_fp8_f32 v62, v70, v71 op_sel:[0,0,1]              // 000000009558: D2A2403E 00028F46
	v_cvt_pk_fp8_f32 v63, v72, v73                             // 000000009560: D2A2003F 00029348
	v_cvt_pk_fp8_f32 v63, v74, v75 op_sel:[0,0,1]              // 000000009568: D2A2403F 0002974A
	ds_write_b128 v43, v[60:63] offset:1024                    // 000000009570: D9BE0400 00003C2B
	s_waitcnt lgkmcnt(0)                                       // 000000009578: BF8CC07F
	s_barrier                                                  // 00000000957C: BF8A0000
	ds_read_b128 v[60:63], v42 offset:1024                     // 000000009580: D9FE0400 3C00002A
	ds_read_b128 v[64:67], v42 offset:2048                     // 000000009588: D9FE0800 4000002A
	s_waitcnt lgkmcnt(0)                                       // 000000009590: BF8CC07F
	v_permlane32_swap_b32_e32 v60, v62                         // 000000009594: 7E78B53E
	v_permlane32_swap_b32_e32 v61, v63                         // 000000009598: 7E7AB53F
	v_swap_b32 v61, v62                                        // 00000000959C: 7E7AA33E
	v_permlane32_swap_b32_e32 v64, v66                         // 0000000095A0: 7E80B542
	v_permlane32_swap_b32_e32 v65, v67                         // 0000000095A4: 7E82B543
	v_swap_b32 v65, v66                                        // 0000000095A8: 7E82A342
	v_mov_b32_e32 v36, v21                                     // 0000000095AC: 7E480315
	v_mov_b32_e32 v37, v21                                     // 0000000095B0: 7E4A0315
	v_pk_mul_f32 v[76:77], v[36:37], v[76:77]                  // 0000000095B4: D3B1404C 18029924
	v_pk_mul_f32 v[78:79], v[36:37], v[78:79]                  // 0000000095BC: D3B1404E 18029D24
	v_pk_mul_f32 v[80:81], v[36:37], v[80:81]                  // 0000000095C4: D3B14050 1802A124
	v_pk_mul_f32 v[82:83], v[36:37], v[82:83]                  // 0000000095CC: D3B14052 1802A524
	v_pk_mul_f32 v[84:85], v[36:37], v[84:85]                  // 0000000095D4: D3B14054 1802A924
	v_pk_mul_f32 v[86:87], v[36:37], v[86:87]                  // 0000000095DC: D3B14056 1802AD24
	v_pk_mul_f32 v[88:89], v[36:37], v[88:89]                  // 0000000095E4: D3B14058 1802B124
	v_pk_mul_f32 v[90:91], v[36:37], v[90:91]                  // 0000000095EC: D3B1405A 1802B524
	v_pk_mul_f32 v[92:93], v[36:37], v[92:93]                  // 0000000095F4: D3B1405C 1802B924
	v_pk_mul_f32 v[94:95], v[36:37], v[94:95]                  // 0000000095FC: D3B1405E 1802BD24
	v_pk_mul_f32 v[96:97], v[36:37], v[96:97]                  // 000000009604: D3B14060 1802C124
	v_pk_mul_f32 v[98:99], v[36:37], v[98:99]                  // 00000000960C: D3B14062 1802C524
	v_pk_mul_f32 v[100:101], v[36:37], v[100:101]              // 000000009614: D3B14064 1802C924
	v_pk_mul_f32 v[102:103], v[36:37], v[102:103]              // 00000000961C: D3B14066 1802CD24
	v_pk_mul_f32 v[104:105], v[36:37], v[104:105]              // 000000009624: D3B14068 1802D124
	v_pk_mul_f32 v[106:107], v[36:37], v[106:107]              // 00000000962C: D3B1406A 1802D524
	v_pk_mul_f32 v[108:109], v[36:37], v[108:109]              // 000000009634: D3B1406C 1802D924
	v_pk_mul_f32 v[110:111], v[36:37], v[110:111]              // 00000000963C: D3B1406E 1802DD24
	v_pk_mul_f32 v[112:113], v[36:37], v[112:113]              // 000000009644: D3B14070 1802E124
	v_pk_mul_f32 v[114:115], v[36:37], v[114:115]              // 00000000964C: D3B14072 1802E524
	v_pk_mul_f32 v[116:117], v[36:37], v[116:117]              // 000000009654: D3B14074 1802E924
	v_pk_mul_f32 v[118:119], v[36:37], v[118:119]              // 00000000965C: D3B14076 1802ED24
	v_pk_mul_f32 v[120:121], v[36:37], v[120:121]              // 000000009664: D3B14078 1802F124
	v_pk_mul_f32 v[122:123], v[36:37], v[122:123]              // 00000000966C: D3B1407A 1802F524
	v_pk_mul_f32 v[124:125], v[36:37], v[124:125]              // 000000009674: D3B1407C 1802F924
	v_pk_mul_f32 v[126:127], v[36:37], v[126:127]              // 00000000967C: D3B1407E 1802FD24
	v_pk_mul_f32 v[128:129], v[36:37], v[128:129]              // 000000009684: D3B14080 18030124
	v_pk_mul_f32 v[130:131], v[36:37], v[130:131]              // 00000000968C: D3B14082 18030524
	v_pk_mul_f32 v[132:133], v[36:37], v[132:133]              // 000000009694: D3B14084 18030924
	v_pk_mul_f32 v[134:135], v[36:37], v[134:135]              // 00000000969C: D3B14086 18030D24
	v_pk_mul_f32 v[136:137], v[36:37], v[136:137]              // 0000000096A4: D3B14088 18031124
	v_pk_mul_f32 v[138:139], v[36:37], v[138:139]              // 0000000096AC: D3B1408A 18031524
	v_pk_mul_f32 v[140:141], v[36:37], v[140:141]              // 0000000096B4: D3B1408C 18031924
	v_pk_mul_f32 v[142:143], v[36:37], v[142:143]              // 0000000096BC: D3B1408E 18031D24
	v_pk_mul_f32 v[144:145], v[36:37], v[144:145]              // 0000000096C4: D3B14090 18032124
	v_pk_mul_f32 v[146:147], v[36:37], v[146:147]              // 0000000096CC: D3B14092 18032524
	v_pk_mul_f32 v[148:149], v[36:37], v[148:149]              // 0000000096D4: D3B14094 18032924
	v_pk_mul_f32 v[150:151], v[36:37], v[150:151]              // 0000000096DC: D3B14096 18032D24
	v_pk_mul_f32 v[152:153], v[36:37], v[152:153]              // 0000000096E4: D3B14098 18033124
	v_pk_mul_f32 v[154:155], v[36:37], v[154:155]              // 0000000096EC: D3B1409A 18033524
	v_pk_mul_f32 v[156:157], v[36:37], v[156:157]              // 0000000096F4: D3B1409C 18033924
	v_pk_mul_f32 v[158:159], v[36:37], v[158:159]              // 0000000096FC: D3B1409E 18033D24
	v_pk_mul_f32 v[160:161], v[36:37], v[160:161]              // 000000009704: D3B140A0 18034124
	v_pk_mul_f32 v[162:163], v[36:37], v[162:163]              // 00000000970C: D3B140A2 18034524
	v_pk_mul_f32 v[164:165], v[36:37], v[164:165]              // 000000009714: D3B140A4 18034924
	v_pk_mul_f32 v[166:167], v[36:37], v[166:167]              // 00000000971C: D3B140A6 18034D24
	v_pk_mul_f32 v[168:169], v[36:37], v[168:169]              // 000000009724: D3B140A8 18035124
	v_pk_mul_f32 v[170:171], v[36:37], v[170:171]              // 00000000972C: D3B140AA 18035524
	v_pk_mul_f32 v[172:173], v[36:37], v[172:173]              // 000000009734: D3B140AC 18035924
	v_pk_mul_f32 v[174:175], v[36:37], v[174:175]              // 00000000973C: D3B140AE 18035D24
	v_pk_mul_f32 v[176:177], v[36:37], v[176:177]              // 000000009744: D3B140B0 18036124
	v_pk_mul_f32 v[178:179], v[36:37], v[178:179]              // 00000000974C: D3B140B2 18036524
	v_pk_mul_f32 v[180:181], v[36:37], v[180:181]              // 000000009754: D3B140B4 18036924
	v_pk_mul_f32 v[182:183], v[36:37], v[182:183]              // 00000000975C: D3B140B6 18036D24
	v_pk_mul_f32 v[184:185], v[36:37], v[184:185]              // 000000009764: D3B140B8 18037124
	v_pk_mul_f32 v[186:187], v[36:37], v[186:187]              // 00000000976C: D3B140BA 18037524
	v_pk_mul_f32 v[188:189], v[36:37], v[188:189]              // 000000009774: D3B140BC 18037924
	v_pk_mul_f32 v[190:191], v[36:37], v[190:191]              // 00000000977C: D3B140BE 18037D24
	v_pk_mul_f32 v[192:193], v[36:37], v[192:193]              // 000000009784: D3B140C0 18038124
	v_pk_mul_f32 v[194:195], v[36:37], v[194:195]              // 00000000978C: D3B140C2 18038524
	v_pk_mul_f32 v[196:197], v[36:37], v[196:197]              // 000000009794: D3B140C4 18038924
	v_pk_mul_f32 v[198:199], v[36:37], v[198:199]              // 00000000979C: D3B140C6 18038D24
	v_pk_mul_f32 v[200:201], v[36:37], v[200:201]              // 0000000097A4: D3B140C8 18039124
	v_pk_mul_f32 v[202:203], v[36:37], v[202:203]              // 0000000097AC: D3B140CA 18039524
	v_mfma_f32_32x32x64_f8f6f4 v[76:91], a[72:79], v[60:67], v[76:91]// 0000000097B4: D3AE004C 0D327948
	v_mfma_f32_32x32x64_f8f6f4 v[92:107], a[80:87], v[60:67], v[92:107]// 0000000097BC: D3AE005C 0D727950
	v_mfma_f32_32x32x64_f8f6f4 v[108:123], a[88:95], v[60:67], v[108:123]// 0000000097C4: D3AE006C 0DB27958
	v_mfma_f32_32x32x64_f8f6f4 v[124:139], a[96:103], v[60:67], v[124:139]// 0000000097CC: D3AE007C 0DF27960
	v_mfma_f32_32x32x64_f8f6f4 v[140:155], a[104:111], v[60:67], v[140:155]// 0000000097D4: D3AE008C 0E327968
	v_mfma_f32_32x32x64_f8f6f4 v[156:171], a[112:119], v[60:67], v[156:171]// 0000000097DC: D3AE009C 0E727970
	v_mfma_f32_32x32x64_f8f6f4 v[172:187], a[120:127], v[60:67], v[172:187]// 0000000097E4: D3AE00AC 0EB27978
	v_mfma_f32_32x32x64_f8f6f4 v[188:203], a[128:135], v[60:67], v[188:203]// 0000000097EC: D3AE00BC 0EF27980
	s_nop 8                                                    // 0000000097F4: BF800008
	s_branch label_8AD0                                        // 0000000097F8: BF8205B5

00000000000097fc <label_73FC>:
	s_waitcnt lgkmcnt(4)                                       // 0000000097FC: BF8CC47F
	v_mfma_f32_32x32x64_f8f6f4 v[44:59], a[72:79], a[0:7], 0   // 000000009800: D3AE002C 1A020148
	v_mfma_f32_32x32x64_f8f6f4 v[44:59], a[80:87], a[8:15], v[44:59]// 000000009808: D3AE002C 1CB21150
	v_mfma_f32_32x32x64_f8f6f4 v[44:59], a[88:95], a[16:23], v[44:59]// 000000009810: D3AE002C 1CB22158
	ds_read_b64_tr_b8 a[72:73], v17                            // 000000009818: DBC40000 48000011
	ds_read_b64_tr_b8 a[74:75], v18                            // 000000009820: DBC40000 4A000012
	ds_read_b64_tr_b8 a[76:77], v17 offset:18432               // 000000009828: DBC44800 4C000011
	ds_read_b64_tr_b8 a[78:79], v18 offset:18432               // 000000009830: DBC44800 4E000012
	v_mfma_f32_32x32x64_f8f6f4 v[44:59], a[96:103], a[24:31], v[44:59]// 000000009838: D3AE002C 1CB23160
	ds_read_b64_tr_b8 a[80:81], v19                            // 000000009840: DBC40000 50000013
	ds_read_b64_tr_b8 a[82:83], v20                            // 000000009848: DBC40000 52000014
	ds_read_b64_tr_b8 a[84:85], v19 offset:18432               // 000000009850: DBC44800 54000013
	ds_read_b64_tr_b8 a[86:87], v20 offset:18432               // 000000009858: DBC44800 56000014
	v_mfma_f32_32x32x64_f8f6f4 v[44:59], a[104:111], a[32:39], v[44:59]// 000000009860: D3AE002C 1CB24168
	ds_read_b64_tr_b8 a[88:89], v17 offset:1024                // 000000009868: DBC40400 58000011
	ds_read_b64_tr_b8 a[90:91], v18 offset:1024                // 000000009870: DBC40400 5A000012
	ds_read_b64_tr_b8 a[92:93], v17 offset:19456               // 000000009878: DBC44C00 5C000011
	ds_read_b64_tr_b8 a[94:95], v18 offset:19456               // 000000009880: DBC44C00 5E000012
	v_mfma_f32_32x32x64_f8f6f4 v[44:59], a[112:119], a[40:47], v[44:59]// 000000009888: D3AE002C 1CB25170
	ds_read_b64_tr_b8 a[96:97], v19 offset:1024                // 000000009890: DBC40400 60000013
	ds_read_b64_tr_b8 a[98:99], v20 offset:1024                // 000000009898: DBC40400 62000014
	ds_read_b64_tr_b8 a[100:101], v19 offset:19456             // 0000000098A0: DBC44C00 64000013
	ds_read_b64_tr_b8 a[102:103], v20 offset:19456             // 0000000098A8: DBC44C00 66000014
	v_mfma_f32_32x32x64_f8f6f4 v[44:59], a[120:127], a[48:55], v[44:59]// 0000000098B0: D3AE002C 1CB26178
	ds_read_b64_tr_b8 a[104:105], v17 offset:2048              // 0000000098B8: DBC40800 68000011
	ds_read_b64_tr_b8 a[106:107], v18 offset:2048              // 0000000098C0: DBC40800 6A000012
	ds_read_b64_tr_b8 a[108:109], v17 offset:20480             // 0000000098C8: DBC45000 6C000011
	ds_read_b64_tr_b8 a[110:111], v18 offset:20480             // 0000000098D0: DBC45000 6E000012
	v_mfma_f32_32x32x64_f8f6f4 v[44:59], a[128:135], a[56:63], v[44:59]// 0000000098D8: D3AE002C 1CB27180
	ds_read_b64_tr_b8 a[112:113], v19 offset:2048              // 0000000098E0: DBC40800 70000013
	ds_read_b64_tr_b8 a[114:115], v20 offset:2048              // 0000000098E8: DBC40800 72000014
	ds_read_b64_tr_b8 a[116:117], v19 offset:20480             // 0000000098F0: DBC45000 74000013
	ds_read_b64_tr_b8 a[118:119], v20 offset:20480             // 0000000098F8: DBC45000 76000014
	v_mfma_f32_32x32x64_f8f6f4 v[44:59], a[136:143], a[64:71], v[44:59]// 000000009900: D3AE002C 1CB28188
	ds_read_b64_tr_b8 a[120:121], v17 offset:3072              // 000000009908: DBC40C00 78000011
	ds_read_b64_tr_b8 a[122:123], v18 offset:3072              // 000000009910: DBC40C00 7A000012
	ds_read_b64_tr_b8 a[124:125], v17 offset:21504             // 000000009918: DBC45400 7C000011
	ds_read_b64_tr_b8 a[126:127], v18 offset:21504             // 000000009920: DBC45400 7E000012
	ds_read_b64_tr_b8 a[128:129], v19 offset:3072              // 000000009928: DBC40C00 80000013
	ds_read_b64_tr_b8 a[130:131], v20 offset:3072              // 000000009930: DBC40C00 82000014
	ds_read_b64_tr_b8 a[132:133], v19 offset:21504             // 000000009938: DBC45400 84000013
	ds_read_b64_tr_b8 a[134:135], v20 offset:21504             // 000000009940: DBC45400 86000014
	s_and_b32 s56, s48, 0xff                                   // 000000009948: 8638FF30 000000FF
	v_mov_b32_e32 v36, s56                                     // 000000009950: 7E480238
	v_lshrrev_b32_e32 v204, 5, v0                              // 000000009954: 21980085
	v_mul_i32_i24_e32 v204, 4, v204                            // 000000009958: 0D999884
	s_and_b32 s56, s7, 1                                       // 00000000995C: 86388107
	s_mov_b32 s57, 32                                          // 000000009960: BEB900A0
	s_mul_i32 s56, s57, s56                                    // 000000009964: 92383839
	v_add_u32_e32 v204, s56, v204                              // 000000009968: 69999838
	v_add_u32_e32 v205, 1, v204                                // 00000000996C: 699B9881
	v_add_u32_e32 v206, 2, v204                                // 000000009970: 699D9882
	v_add_u32_e32 v207, 3, v204                                // 000000009974: 699F9883
	v_mov_b32_e32 v35, 0xff800000                              // 000000009978: 7E4602FF FF800000
	v_cmp_lt_u32_e64 s[36:37], v204, v36                       // 000000009980: D0C90024 000249CC
	v_add_u32_e32 v204, 8, v204                                // 000000009988: 69999888
	s_nop 0                                                    // 00000000998C: BF800000
	v_cndmask_b32_e64 v44, v35, v44, s[36:37]                  // 000000009990: D100002C 00925923
	v_cmp_lt_u32_e64 s[36:37], v205, v36                       // 000000009998: D0C90024 000249CD
	v_add_u32_e32 v205, 8, v205                                // 0000000099A0: 699B9A88
	s_nop 0                                                    // 0000000099A4: BF800000
	v_cndmask_b32_e64 v45, v35, v45, s[36:37]                  // 0000000099A8: D100002D 00925B23
	v_cmp_lt_u32_e64 s[36:37], v206, v36                       // 0000000099B0: D0C90024 000249CE
	v_add_u32_e32 v206, 8, v206                                // 0000000099B8: 699D9C88
	s_nop 0                                                    // 0000000099BC: BF800000
	v_cndmask_b32_e64 v46, v35, v46, s[36:37]                  // 0000000099C0: D100002E 00925D23
	v_cmp_lt_u32_e64 s[36:37], v207, v36                       // 0000000099C8: D0C90024 000249CF
	v_add_u32_e32 v207, 8, v207                                // 0000000099D0: 699F9E88
	s_nop 0                                                    // 0000000099D4: BF800000
	v_cndmask_b32_e64 v47, v35, v47, s[36:37]                  // 0000000099D8: D100002F 00925F23
	v_cmp_lt_u32_e64 s[36:37], v204, v36                       // 0000000099E0: D0C90024 000249CC
	v_add_u32_e32 v204, 8, v204                                // 0000000099E8: 69999888
	s_nop 0                                                    // 0000000099EC: BF800000
	v_cndmask_b32_e64 v48, v35, v48, s[36:37]                  // 0000000099F0: D1000030 00926123
	v_cmp_lt_u32_e64 s[36:37], v205, v36                       // 0000000099F8: D0C90024 000249CD
	v_add_u32_e32 v205, 8, v205                                // 000000009A00: 699B9A88
	s_nop 0                                                    // 000000009A04: BF800000
	v_cndmask_b32_e64 v49, v35, v49, s[36:37]                  // 000000009A08: D1000031 00926323
	v_cmp_lt_u32_e64 s[36:37], v206, v36                       // 000000009A10: D0C90024 000249CE
	v_add_u32_e32 v206, 8, v206                                // 000000009A18: 699D9C88
	s_nop 0                                                    // 000000009A1C: BF800000
	v_cndmask_b32_e64 v50, v35, v50, s[36:37]                  // 000000009A20: D1000032 00926523
	v_cmp_lt_u32_e64 s[36:37], v207, v36                       // 000000009A28: D0C90024 000249CF
	v_add_u32_e32 v207, 8, v207                                // 000000009A30: 699F9E88
	s_nop 0                                                    // 000000009A34: BF800000
	v_cndmask_b32_e64 v51, v35, v51, s[36:37]                  // 000000009A38: D1000033 00926723
	v_cmp_lt_u32_e64 s[36:37], v204, v36                       // 000000009A40: D0C90024 000249CC
	v_add_u32_e32 v204, 8, v204                                // 000000009A48: 69999888
	s_nop 0                                                    // 000000009A4C: BF800000
	v_cndmask_b32_e64 v52, v35, v52, s[36:37]                  // 000000009A50: D1000034 00926923
	v_cmp_lt_u32_e64 s[36:37], v205, v36                       // 000000009A58: D0C90024 000249CD
	v_add_u32_e32 v205, 8, v205                                // 000000009A60: 699B9A88
	s_nop 0                                                    // 000000009A64: BF800000
	v_cndmask_b32_e64 v53, v35, v53, s[36:37]                  // 000000009A68: D1000035 00926B23
	v_cmp_lt_u32_e64 s[36:37], v206, v36                       // 000000009A70: D0C90024 000249CE
	v_add_u32_e32 v206, 8, v206                                // 000000009A78: 699D9C88
	s_nop 0                                                    // 000000009A7C: BF800000
	v_cndmask_b32_e64 v54, v35, v54, s[36:37]                  // 000000009A80: D1000036 00926D23
	v_cmp_lt_u32_e64 s[36:37], v207, v36                       // 000000009A88: D0C90024 000249CF
	v_add_u32_e32 v207, 8, v207                                // 000000009A90: 699F9E88
	s_nop 0                                                    // 000000009A94: BF800000
	v_cndmask_b32_e64 v55, v35, v55, s[36:37]                  // 000000009A98: D1000037 00926F23
	v_cmp_lt_u32_e64 s[36:37], v204, v36                       // 000000009AA0: D0C90024 000249CC
	v_add_u32_e32 v204, 8, v204                                // 000000009AA8: 69999888
	s_nop 0                                                    // 000000009AAC: BF800000
	v_cndmask_b32_e64 v56, v35, v56, s[36:37]                  // 000000009AB0: D1000038 00927123
	v_cmp_lt_u32_e64 s[36:37], v205, v36                       // 000000009AB8: D0C90024 000249CD
	v_add_u32_e32 v205, 8, v205                                // 000000009AC0: 699B9A88
	s_nop 0                                                    // 000000009AC4: BF800000
	v_cndmask_b32_e64 v57, v35, v57, s[36:37]                  // 000000009AC8: D1000039 00927323
	v_cmp_lt_u32_e64 s[36:37], v206, v36                       // 000000009AD0: D0C90024 000249CE
	v_add_u32_e32 v206, 8, v206                                // 000000009AD8: 699D9C88
	s_nop 0                                                    // 000000009ADC: BF800000
	v_cndmask_b32_e64 v58, v35, v58, s[36:37]                  // 000000009AE0: D100003A 00927523
	v_cmp_lt_u32_e64 s[36:37], v207, v36                       // 000000009AE8: D0C90024 000249CF
	v_add_u32_e32 v207, 8, v207                                // 000000009AF0: 699F9E88
	s_nop 0                                                    // 000000009AF4: BF800000
	v_cndmask_b32_e64 v59, v35, v59, s[36:37]                  // 000000009AF8: D100003B 00927723
	s_nop 2                                                    // 000000009B00: BF800002
	v_mov_b32_e32 v213, v44                                    // 000000009B04: 7FAA032C
	v_max3_f32 v213, v44, v45, v213                            // 000000009B08: D1D300D5 07565B2C
	v_max3_f32 v213, v46, v47, v213                            // 000000009B10: D1D300D5 07565F2E
	v_max3_f32 v213, v48, v49, v213                            // 000000009B18: D1D300D5 07566330
	v_max3_f32 v213, v50, v51, v213                            // 000000009B20: D1D300D5 07566732
	v_max3_f32 v213, v52, v53, v213                            // 000000009B28: D1D300D5 07566B34
	v_max3_f32 v213, v54, v55, v213                            // 000000009B30: D1D300D5 07566F36
	v_max3_f32 v213, v56, v57, v213                            // 000000009B38: D1D300D5 07567338
	v_max3_f32 v213, v58, v59, v213                            // 000000009B40: D1D300D5 0756773A
	v_mov_b32_e32 v35, v213                                    // 000000009B48: 7E4603D5
	v_mov_b32_e32 v36, v213                                    // 000000009B4C: 7E4803D5
	s_nop 1                                                    // 000000009B50: BF800001
	v_permlane32_swap_b32_e32 v35, v36                         // 000000009B54: 7E46B524
	v_max3_f32 v213, v35, v36, v213                            // 000000009B58: D1D300D5 07564923
	ds_write_b32 v41, v213                                     // 000000009B60: D81A0000 0000D529
	s_waitcnt lgkmcnt(0)                                       // 000000009B68: BF8CC07F
	s_barrier                                                  // 000000009B6C: BF8A0000
	ds_read_b32 v35, v40                                       // 000000009B70: D86C0000 23000028
	ds_read_b32 v36, v40 offset:256                            // 000000009B78: D86C0100 24000028
	s_waitcnt lgkmcnt(0)                                       // 000000009B80: BF8CC07F
	v_max3_f32 v213, v35, v36, v213                            // 000000009B84: D1D300D5 07564923
	v_mov_b32_e32 v35, 0xff800000                              // 000000009B8C: 7E4602FF FF800000
	v_cmp_eq_u32_e64 s[36:37], v35, v2                         // 000000009B94: D0CA0024 00020523
	v_max_f32_e32 v216, v213, v2                               // 000000009B9C: 17B005D5
	v_sub_f32_e32 v21, v2, v216                                // 000000009BA0: 042BB102
	v_cndmask_b32_e64 v21, v21, 0, s[36:37]                    // 000000009BA4: D1000015 00910115
	v_mov_b32_e32 v2, v216                                     // 000000009BAC: 7E0403D8
	v_mul_f32_e32 v212, s5, v216                               // 000000009BB0: 0BA9B005
	v_mul_f32_e32 v21, s5, v21                                 // 000000009BB4: 0A2A2A05
	v_exp_f32_e32 v21, v21                                     // 000000009BB8: 7E2A4115
	v_fma_f32 v44, v44, s5, -v212                              // 000000009BBC: D1CB002C 87500B2C
	v_fma_f32 v45, v45, s5, -v212                              // 000000009BC4: D1CB002D 87500B2D
	v_fma_f32 v46, v46, s5, -v212                              // 000000009BCC: D1CB002E 87500B2E
	v_fma_f32 v47, v47, s5, -v212                              // 000000009BD4: D1CB002F 87500B2F
	v_fma_f32 v48, v48, s5, -v212                              // 000000009BDC: D1CB0030 87500B30
	v_fma_f32 v49, v49, s5, -v212                              // 000000009BE4: D1CB0031 87500B31
	v_fma_f32 v50, v50, s5, -v212                              // 000000009BEC: D1CB0032 87500B32
	v_fma_f32 v51, v51, s5, -v212                              // 000000009BF4: D1CB0033 87500B33
	v_fma_f32 v52, v52, s5, -v212                              // 000000009BFC: D1CB0034 87500B34
	v_fma_f32 v53, v53, s5, -v212                              // 000000009C04: D1CB0035 87500B35
	v_fma_f32 v54, v54, s5, -v212                              // 000000009C0C: D1CB0036 87500B36
	v_fma_f32 v55, v55, s5, -v212                              // 000000009C14: D1CB0037 87500B37
	v_fma_f32 v56, v56, s5, -v212                              // 000000009C1C: D1CB0038 87500B38
	v_fma_f32 v57, v57, s5, -v212                              // 000000009C24: D1CB0039 87500B39
	v_fma_f32 v58, v58, s5, -v212                              // 000000009C2C: D1CB003A 87500B3A
	v_fma_f32 v59, v59, s5, -v212                              // 000000009C34: D1CB003B 87500B3B
	v_mov_b32_e32 v35, 0xffc00000                              // 000000009C3C: 7E4602FF FFC00000
	v_exp_f32_e32 v44, v44                                     // 000000009C44: 7E58412C
	v_exp_f32_e32 v45, v45                                     // 000000009C48: 7E5A412D
	v_exp_f32_e32 v46, v46                                     // 000000009C4C: 7E5C412E
	v_exp_f32_e32 v47, v47                                     // 000000009C50: 7E5E412F
	v_exp_f32_e32 v48, v48                                     // 000000009C54: 7E604130
	v_exp_f32_e32 v49, v49                                     // 000000009C58: 7E624131
	v_exp_f32_e32 v50, v50                                     // 000000009C5C: 7E644132
	v_exp_f32_e32 v51, v51                                     // 000000009C60: 7E664133
	v_exp_f32_e32 v52, v52                                     // 000000009C64: 7E684134
	v_exp_f32_e32 v53, v53                                     // 000000009C68: 7E6A4135
	v_exp_f32_e32 v54, v54                                     // 000000009C6C: 7E6C4136
	v_exp_f32_e32 v55, v55                                     // 000000009C70: 7E6E4137
	v_exp_f32_e32 v56, v56                                     // 000000009C74: 7E704138
	v_exp_f32_e32 v57, v57                                     // 000000009C78: 7E724139
	v_exp_f32_e32 v58, v58                                     // 000000009C7C: 7E74413A
	v_exp_f32_e32 v59, v59                                     // 000000009C80: 7E76413B
	v_mul_f32_e32 v4, v21, v4                                  // 000000009C84: 0A080915
	v_mov_b32_e32 v35, v44                                     // 000000009C88: 7E46032C
	v_add_f32_e32 v35, v45, v35                                // 000000009C8C: 0246472D
	v_add_f32_e32 v35, v46, v35                                // 000000009C90: 0246472E
	v_add_f32_e32 v35, v47, v35                                // 000000009C94: 0246472F
	v_add_f32_e32 v35, v48, v35                                // 000000009C98: 02464730
	v_add_f32_e32 v35, v49, v35                                // 000000009C9C: 02464731
	v_add_f32_e32 v35, v50, v35                                // 000000009CA0: 02464732
	v_add_f32_e32 v35, v51, v35                                // 000000009CA4: 02464733
	v_add_f32_e32 v35, v52, v35                                // 000000009CA8: 02464734
	v_add_f32_e32 v35, v53, v35                                // 000000009CAC: 02464735
	v_add_f32_e32 v35, v54, v35                                // 000000009CB0: 02464736
	v_add_f32_e32 v35, v55, v35                                // 000000009CB4: 02464737
	v_add_f32_e32 v35, v56, v35                                // 000000009CB8: 02464738
	v_add_f32_e32 v35, v57, v35                                // 000000009CBC: 02464739
	v_add_f32_e32 v35, v58, v35                                // 000000009CC0: 0246473A
	v_add_f32_e32 v35, v59, v35                                // 000000009CC4: 0246473B
	v_add_f32_e32 v4, v35, v4                                  // 000000009CC8: 02080923
	v_cvt_pk_fp8_f32 v44, v44, v45                             // 000000009CCC: D2A2002C 00025B2C
	v_cvt_pk_fp8_f32 v44, v46, v47 op_sel:[0,0,1]              // 000000009CD4: D2A2402C 00025F2E
	v_cvt_pk_fp8_f32 v45, v48, v49                             // 000000009CDC: D2A2002D 00026330
	v_cvt_pk_fp8_f32 v45, v50, v51 op_sel:[0,0,1]              // 000000009CE4: D2A2402D 00026732
	v_cvt_pk_fp8_f32 v46, v52, v53                             // 000000009CEC: D2A2002E 00026B34
	v_cvt_pk_fp8_f32 v46, v54, v55 op_sel:[0,0,1]              // 000000009CF4: D2A2402E 00026F36
	v_cvt_pk_fp8_f32 v47, v56, v57                             // 000000009CFC: D2A2002F 00027338
	v_cvt_pk_fp8_f32 v47, v58, v59 op_sel:[0,0,1]              // 000000009D04: D2A2402F 0002773A
	ds_write_b128 v43, v[44:47] offset:1024                    // 000000009D0C: D9BE0400 00002C2B
	s_waitcnt lgkmcnt(0)                                       // 000000009D14: BF8CC07F
	s_barrier                                                  // 000000009D18: BF8A0000
	ds_read_b128 v[44:47], v42 offset:1024                     // 000000009D1C: D9FE0400 2C00002A
	ds_read_b128 v[48:51], v42 offset:2048                     // 000000009D24: D9FE0800 3000002A
	s_waitcnt lgkmcnt(0)                                       // 000000009D2C: BF8CC07F
	v_permlane32_swap_b32_e32 v44, v46                         // 000000009D30: 7E58B52E
	v_permlane32_swap_b32_e32 v45, v47                         // 000000009D34: 7E5AB52F
	v_swap_b32 v45, v46                                        // 000000009D38: 7E5AA32E
	v_permlane32_swap_b32_e32 v48, v50                         // 000000009D3C: 7E60B532
	v_permlane32_swap_b32_e32 v49, v51                         // 000000009D40: 7E62B533
	v_swap_b32 v49, v50                                        // 000000009D44: 7E62A332
	v_mov_b32_e32 v36, v21                                     // 000000009D48: 7E480315
	v_mov_b32_e32 v37, v21                                     // 000000009D4C: 7E4A0315
	v_pk_mul_f32 v[76:77], v[36:37], v[76:77]                  // 000000009D50: D3B1404C 18029924
	v_pk_mul_f32 v[78:79], v[36:37], v[78:79]                  // 000000009D58: D3B1404E 18029D24
	v_pk_mul_f32 v[80:81], v[36:37], v[80:81]                  // 000000009D60: D3B14050 1802A124
	v_pk_mul_f32 v[82:83], v[36:37], v[82:83]                  // 000000009D68: D3B14052 1802A524
	v_pk_mul_f32 v[84:85], v[36:37], v[84:85]                  // 000000009D70: D3B14054 1802A924
	v_pk_mul_f32 v[86:87], v[36:37], v[86:87]                  // 000000009D78: D3B14056 1802AD24
	v_pk_mul_f32 v[88:89], v[36:37], v[88:89]                  // 000000009D80: D3B14058 1802B124
	v_pk_mul_f32 v[90:91], v[36:37], v[90:91]                  // 000000009D88: D3B1405A 1802B524
	v_pk_mul_f32 v[92:93], v[36:37], v[92:93]                  // 000000009D90: D3B1405C 1802B924
	v_pk_mul_f32 v[94:95], v[36:37], v[94:95]                  // 000000009D98: D3B1405E 1802BD24
	v_pk_mul_f32 v[96:97], v[36:37], v[96:97]                  // 000000009DA0: D3B14060 1802C124
	v_pk_mul_f32 v[98:99], v[36:37], v[98:99]                  // 000000009DA8: D3B14062 1802C524
	v_pk_mul_f32 v[100:101], v[36:37], v[100:101]              // 000000009DB0: D3B14064 1802C924
	v_pk_mul_f32 v[102:103], v[36:37], v[102:103]              // 000000009DB8: D3B14066 1802CD24
	v_pk_mul_f32 v[104:105], v[36:37], v[104:105]              // 000000009DC0: D3B14068 1802D124
	v_pk_mul_f32 v[106:107], v[36:37], v[106:107]              // 000000009DC8: D3B1406A 1802D524
	v_pk_mul_f32 v[108:109], v[36:37], v[108:109]              // 000000009DD0: D3B1406C 1802D924
	v_pk_mul_f32 v[110:111], v[36:37], v[110:111]              // 000000009DD8: D3B1406E 1802DD24
	v_pk_mul_f32 v[112:113], v[36:37], v[112:113]              // 000000009DE0: D3B14070 1802E124
	v_pk_mul_f32 v[114:115], v[36:37], v[114:115]              // 000000009DE8: D3B14072 1802E524
	v_pk_mul_f32 v[116:117], v[36:37], v[116:117]              // 000000009DF0: D3B14074 1802E924
	v_pk_mul_f32 v[118:119], v[36:37], v[118:119]              // 000000009DF8: D3B14076 1802ED24
	v_pk_mul_f32 v[120:121], v[36:37], v[120:121]              // 000000009E00: D3B14078 1802F124
	v_pk_mul_f32 v[122:123], v[36:37], v[122:123]              // 000000009E08: D3B1407A 1802F524
	v_pk_mul_f32 v[124:125], v[36:37], v[124:125]              // 000000009E10: D3B1407C 1802F924
	v_pk_mul_f32 v[126:127], v[36:37], v[126:127]              // 000000009E18: D3B1407E 1802FD24
	v_pk_mul_f32 v[128:129], v[36:37], v[128:129]              // 000000009E20: D3B14080 18030124
	v_pk_mul_f32 v[130:131], v[36:37], v[130:131]              // 000000009E28: D3B14082 18030524
	v_pk_mul_f32 v[132:133], v[36:37], v[132:133]              // 000000009E30: D3B14084 18030924
	v_pk_mul_f32 v[134:135], v[36:37], v[134:135]              // 000000009E38: D3B14086 18030D24
	v_pk_mul_f32 v[136:137], v[36:37], v[136:137]              // 000000009E40: D3B14088 18031124
	v_pk_mul_f32 v[138:139], v[36:37], v[138:139]              // 000000009E48: D3B1408A 18031524
	v_pk_mul_f32 v[140:141], v[36:37], v[140:141]              // 000000009E50: D3B1408C 18031924
	v_pk_mul_f32 v[142:143], v[36:37], v[142:143]              // 000000009E58: D3B1408E 18031D24
	v_pk_mul_f32 v[144:145], v[36:37], v[144:145]              // 000000009E60: D3B14090 18032124
	v_pk_mul_f32 v[146:147], v[36:37], v[146:147]              // 000000009E68: D3B14092 18032524
	v_pk_mul_f32 v[148:149], v[36:37], v[148:149]              // 000000009E70: D3B14094 18032924
	v_pk_mul_f32 v[150:151], v[36:37], v[150:151]              // 000000009E78: D3B14096 18032D24
	v_pk_mul_f32 v[152:153], v[36:37], v[152:153]              // 000000009E80: D3B14098 18033124
	v_pk_mul_f32 v[154:155], v[36:37], v[154:155]              // 000000009E88: D3B1409A 18033524
	v_pk_mul_f32 v[156:157], v[36:37], v[156:157]              // 000000009E90: D3B1409C 18033924
	v_pk_mul_f32 v[158:159], v[36:37], v[158:159]              // 000000009E98: D3B1409E 18033D24
	v_pk_mul_f32 v[160:161], v[36:37], v[160:161]              // 000000009EA0: D3B140A0 18034124
	v_pk_mul_f32 v[162:163], v[36:37], v[162:163]              // 000000009EA8: D3B140A2 18034524
	v_pk_mul_f32 v[164:165], v[36:37], v[164:165]              // 000000009EB0: D3B140A4 18034924
	v_pk_mul_f32 v[166:167], v[36:37], v[166:167]              // 000000009EB8: D3B140A6 18034D24
	v_pk_mul_f32 v[168:169], v[36:37], v[168:169]              // 000000009EC0: D3B140A8 18035124
	v_pk_mul_f32 v[170:171], v[36:37], v[170:171]              // 000000009EC8: D3B140AA 18035524
	v_pk_mul_f32 v[172:173], v[36:37], v[172:173]              // 000000009ED0: D3B140AC 18035924
	v_pk_mul_f32 v[174:175], v[36:37], v[174:175]              // 000000009ED8: D3B140AE 18035D24
	v_pk_mul_f32 v[176:177], v[36:37], v[176:177]              // 000000009EE0: D3B140B0 18036124
	v_pk_mul_f32 v[178:179], v[36:37], v[178:179]              // 000000009EE8: D3B140B2 18036524
	v_pk_mul_f32 v[180:181], v[36:37], v[180:181]              // 000000009EF0: D3B140B4 18036924
	v_pk_mul_f32 v[182:183], v[36:37], v[182:183]              // 000000009EF8: D3B140B6 18036D24
	v_pk_mul_f32 v[184:185], v[36:37], v[184:185]              // 000000009F00: D3B140B8 18037124
	v_pk_mul_f32 v[186:187], v[36:37], v[186:187]              // 000000009F08: D3B140BA 18037524
	v_pk_mul_f32 v[188:189], v[36:37], v[188:189]              // 000000009F10: D3B140BC 18037924
	v_pk_mul_f32 v[190:191], v[36:37], v[190:191]              // 000000009F18: D3B140BE 18037D24
	v_pk_mul_f32 v[192:193], v[36:37], v[192:193]              // 000000009F20: D3B140C0 18038124
	v_pk_mul_f32 v[194:195], v[36:37], v[194:195]              // 000000009F28: D3B140C2 18038524
	v_pk_mul_f32 v[196:197], v[36:37], v[196:197]              // 000000009F30: D3B140C4 18038924
	v_pk_mul_f32 v[198:199], v[36:37], v[198:199]              // 000000009F38: D3B140C6 18038D24
	v_pk_mul_f32 v[200:201], v[36:37], v[200:201]              // 000000009F40: D3B140C8 18039124
	v_pk_mul_f32 v[202:203], v[36:37], v[202:203]              // 000000009F48: D3B140CA 18039524
	v_mfma_f32_32x32x64_f8f6f4 v[76:91], a[72:79], v[44:51], v[76:91]// 000000009F50: D3AE004C 0D325948
	v_mfma_f32_32x32x64_f8f6f4 v[92:107], a[80:87], v[44:51], v[92:107]// 000000009F58: D3AE005C 0D725950
	v_mfma_f32_32x32x64_f8f6f4 v[108:123], a[88:95], v[44:51], v[108:123]// 000000009F60: D3AE006C 0DB25958
	v_mfma_f32_32x32x64_f8f6f4 v[124:139], a[96:103], v[44:51], v[124:139]// 000000009F68: D3AE007C 0DF25960
	v_mfma_f32_32x32x64_f8f6f4 v[140:155], a[104:111], v[44:51], v[140:155]// 000000009F70: D3AE008C 0E325968
	v_mfma_f32_32x32x64_f8f6f4 v[156:171], a[112:119], v[44:51], v[156:171]// 000000009F78: D3AE009C 0E725970
	v_mfma_f32_32x32x64_f8f6f4 v[172:187], a[120:127], v[44:51], v[172:187]// 000000009F80: D3AE00AC 0EB25978
	v_mfma_f32_32x32x64_f8f6f4 v[188:203], a[128:135], v[44:51], v[188:203]// 000000009F88: D3AE00BC 0EF25980
	s_nop 8                                                    // 000000009F90: BF800008
	s_branch label_8AD0                                        // 000000009F94: BF8203CE

0000000000009f98 <label_7B98>:
	s_waitcnt lgkmcnt(4)                                       // 000000009F98: BF8CC47F
	v_mfma_f32_32x32x64_f8f6f4 v[60:75], a[72:79], a[0:7], 0   // 000000009F9C: D3AE003C 1A020148
	v_mfma_f32_32x32x64_f8f6f4 v[60:75], a[80:87], a[8:15], v[60:75]// 000000009FA4: D3AE003C 1CF21150
	v_mfma_f32_32x32x64_f8f6f4 v[60:75], a[88:95], a[16:23], v[60:75]// 000000009FAC: D3AE003C 1CF22158
	ds_read_b64_tr_b8 a[72:73], v5                             // 000000009FB4: DBC40000 48000005
	ds_read_b64_tr_b8 a[74:75], v6                             // 000000009FBC: DBC40000 4A000006
	ds_read_b64_tr_b8 a[76:77], v5 offset:18432                // 000000009FC4: DBC44800 4C000005
	ds_read_b64_tr_b8 a[78:79], v6 offset:18432                // 000000009FCC: DBC44800 4E000006
	v_mfma_f32_32x32x64_f8f6f4 v[60:75], a[96:103], a[24:31], v[60:75]// 000000009FD4: D3AE003C 1CF23160
	ds_read_b64_tr_b8 a[80:81], v7                             // 000000009FDC: DBC40000 50000007
	ds_read_b64_tr_b8 a[82:83], v8                             // 000000009FE4: DBC40000 52000008
	ds_read_b64_tr_b8 a[84:85], v7 offset:18432                // 000000009FEC: DBC44800 54000007
	ds_read_b64_tr_b8 a[86:87], v8 offset:18432                // 000000009FF4: DBC44800 56000008
	v_mfma_f32_32x32x64_f8f6f4 v[60:75], a[104:111], a[32:39], v[60:75]// 000000009FFC: D3AE003C 1CF24168
	ds_read_b64_tr_b8 a[88:89], v5 offset:1024                 // 00000000A004: DBC40400 58000005
	ds_read_b64_tr_b8 a[90:91], v6 offset:1024                 // 00000000A00C: DBC40400 5A000006
	ds_read_b64_tr_b8 a[92:93], v5 offset:19456                // 00000000A014: DBC44C00 5C000005
	ds_read_b64_tr_b8 a[94:95], v6 offset:19456                // 00000000A01C: DBC44C00 5E000006
	v_mfma_f32_32x32x64_f8f6f4 v[60:75], a[112:119], a[40:47], v[60:75]// 00000000A024: D3AE003C 1CF25170
	ds_read_b64_tr_b8 a[96:97], v7 offset:1024                 // 00000000A02C: DBC40400 60000007
	ds_read_b64_tr_b8 a[98:99], v8 offset:1024                 // 00000000A034: DBC40400 62000008
	ds_read_b64_tr_b8 a[100:101], v7 offset:19456              // 00000000A03C: DBC44C00 64000007
	ds_read_b64_tr_b8 a[102:103], v8 offset:19456              // 00000000A044: DBC44C00 66000008
	v_mfma_f32_32x32x64_f8f6f4 v[60:75], a[120:127], a[48:55], v[60:75]// 00000000A04C: D3AE003C 1CF26178
	ds_read_b64_tr_b8 a[104:105], v5 offset:2048               // 00000000A054: DBC40800 68000005
	ds_read_b64_tr_b8 a[106:107], v6 offset:2048               // 00000000A05C: DBC40800 6A000006
	ds_read_b64_tr_b8 a[108:109], v5 offset:20480              // 00000000A064: DBC45000 6C000005
	ds_read_b64_tr_b8 a[110:111], v6 offset:20480              // 00000000A06C: DBC45000 6E000006
	v_mfma_f32_32x32x64_f8f6f4 v[60:75], a[128:135], a[56:63], v[60:75]// 00000000A074: D3AE003C 1CF27180
	ds_read_b64_tr_b8 a[112:113], v7 offset:2048               // 00000000A07C: DBC40800 70000007
	ds_read_b64_tr_b8 a[114:115], v8 offset:2048               // 00000000A084: DBC40800 72000008
	ds_read_b64_tr_b8 a[116:117], v7 offset:20480              // 00000000A08C: DBC45000 74000007
	ds_read_b64_tr_b8 a[118:119], v8 offset:20480              // 00000000A094: DBC45000 76000008
	v_mfma_f32_32x32x64_f8f6f4 v[60:75], a[136:143], a[64:71], v[60:75]// 00000000A09C: D3AE003C 1CF28188
	ds_read_b64_tr_b8 a[120:121], v5 offset:3072               // 00000000A0A4: DBC40C00 78000005
	ds_read_b64_tr_b8 a[122:123], v6 offset:3072               // 00000000A0AC: DBC40C00 7A000006
	ds_read_b64_tr_b8 a[124:125], v5 offset:21504              // 00000000A0B4: DBC45400 7C000005
	ds_read_b64_tr_b8 a[126:127], v6 offset:21504              // 00000000A0BC: DBC45400 7E000006
	ds_read_b64_tr_b8 a[128:129], v7 offset:3072               // 00000000A0C4: DBC40C00 80000007
	ds_read_b64_tr_b8 a[130:131], v8 offset:3072               // 00000000A0CC: DBC40C00 82000008
	ds_read_b64_tr_b8 a[132:133], v7 offset:21504              // 00000000A0D4: DBC45400 84000007
	ds_read_b64_tr_b8 a[134:135], v8 offset:21504              // 00000000A0DC: DBC45400 86000008
	s_and_b32 s56, s48, 0xff                                   // 00000000A0E4: 8638FF30 000000FF
	v_mov_b32_e32 v36, s56                                     // 00000000A0EC: 7E480238
	v_lshrrev_b32_e32 v204, 5, v0                              // 00000000A0F0: 21980085
	v_mul_i32_i24_e32 v204, 4, v204                            // 00000000A0F4: 0D999884
	s_and_b32 s56, s7, 1                                       // 00000000A0F8: 86388107
	s_mov_b32 s57, 32                                          // 00000000A0FC: BEB900A0
	s_mul_i32 s56, s57, s56                                    // 00000000A100: 92383839
	v_add_u32_e32 v204, s56, v204                              // 00000000A104: 69999838
	v_add_u32_e32 v205, 1, v204                                // 00000000A108: 699B9881
	v_add_u32_e32 v206, 2, v204                                // 00000000A10C: 699D9882
	v_add_u32_e32 v207, 3, v204                                // 00000000A110: 699F9883
	v_mov_b32_e32 v35, 0xff800000                              // 00000000A114: 7E4602FF FF800000
	v_cmp_lt_u32_e64 s[36:37], v204, v36                       // 00000000A11C: D0C90024 000249CC
	v_add_u32_e32 v204, 8, v204                                // 00000000A124: 69999888
	s_nop 0                                                    // 00000000A128: BF800000
	v_cndmask_b32_e64 v60, v35, v60, s[36:37]                  // 00000000A12C: D100003C 00927923
	v_cmp_lt_u32_e64 s[36:37], v205, v36                       // 00000000A134: D0C90024 000249CD
	v_add_u32_e32 v205, 8, v205                                // 00000000A13C: 699B9A88
	s_nop 0                                                    // 00000000A140: BF800000
	v_cndmask_b32_e64 v61, v35, v61, s[36:37]                  // 00000000A144: D100003D 00927B23
	v_cmp_lt_u32_e64 s[36:37], v206, v36                       // 00000000A14C: D0C90024 000249CE
	v_add_u32_e32 v206, 8, v206                                // 00000000A154: 699D9C88
	s_nop 0                                                    // 00000000A158: BF800000
	v_cndmask_b32_e64 v62, v35, v62, s[36:37]                  // 00000000A15C: D100003E 00927D23
	v_cmp_lt_u32_e64 s[36:37], v207, v36                       // 00000000A164: D0C90024 000249CF
	v_add_u32_e32 v207, 8, v207                                // 00000000A16C: 699F9E88
	s_nop 0                                                    // 00000000A170: BF800000
	v_cndmask_b32_e64 v63, v35, v63, s[36:37]                  // 00000000A174: D100003F 00927F23
	v_cmp_lt_u32_e64 s[36:37], v204, v36                       // 00000000A17C: D0C90024 000249CC
	v_add_u32_e32 v204, 8, v204                                // 00000000A184: 69999888
	s_nop 0                                                    // 00000000A188: BF800000
	v_cndmask_b32_e64 v64, v35, v64, s[36:37]                  // 00000000A18C: D1000040 00928123
	v_cmp_lt_u32_e64 s[36:37], v205, v36                       // 00000000A194: D0C90024 000249CD
	v_add_u32_e32 v205, 8, v205                                // 00000000A19C: 699B9A88
	s_nop 0                                                    // 00000000A1A0: BF800000
	v_cndmask_b32_e64 v65, v35, v65, s[36:37]                  // 00000000A1A4: D1000041 00928323
	v_cmp_lt_u32_e64 s[36:37], v206, v36                       // 00000000A1AC: D0C90024 000249CE
	v_add_u32_e32 v206, 8, v206                                // 00000000A1B4: 699D9C88
	s_nop 0                                                    // 00000000A1B8: BF800000
	v_cndmask_b32_e64 v66, v35, v66, s[36:37]                  // 00000000A1BC: D1000042 00928523
	v_cmp_lt_u32_e64 s[36:37], v207, v36                       // 00000000A1C4: D0C90024 000249CF
	v_add_u32_e32 v207, 8, v207                                // 00000000A1CC: 699F9E88
	s_nop 0                                                    // 00000000A1D0: BF800000
	v_cndmask_b32_e64 v67, v35, v67, s[36:37]                  // 00000000A1D4: D1000043 00928723
	v_cmp_lt_u32_e64 s[36:37], v204, v36                       // 00000000A1DC: D0C90024 000249CC
	v_add_u32_e32 v204, 8, v204                                // 00000000A1E4: 69999888
	s_nop 0                                                    // 00000000A1E8: BF800000
	v_cndmask_b32_e64 v68, v35, v68, s[36:37]                  // 00000000A1EC: D1000044 00928923
	v_cmp_lt_u32_e64 s[36:37], v205, v36                       // 00000000A1F4: D0C90024 000249CD
	v_add_u32_e32 v205, 8, v205                                // 00000000A1FC: 699B9A88
	s_nop 0                                                    // 00000000A200: BF800000
	v_cndmask_b32_e64 v69, v35, v69, s[36:37]                  // 00000000A204: D1000045 00928B23
	v_cmp_lt_u32_e64 s[36:37], v206, v36                       // 00000000A20C: D0C90024 000249CE
	v_add_u32_e32 v206, 8, v206                                // 00000000A214: 699D9C88
	s_nop 0                                                    // 00000000A218: BF800000
	v_cndmask_b32_e64 v70, v35, v70, s[36:37]                  // 00000000A21C: D1000046 00928D23
	v_cmp_lt_u32_e64 s[36:37], v207, v36                       // 00000000A224: D0C90024 000249CF
	v_add_u32_e32 v207, 8, v207                                // 00000000A22C: 699F9E88
	s_nop 0                                                    // 00000000A230: BF800000
	v_cndmask_b32_e64 v71, v35, v71, s[36:37]                  // 00000000A234: D1000047 00928F23
	v_cmp_lt_u32_e64 s[36:37], v204, v36                       // 00000000A23C: D0C90024 000249CC
	v_add_u32_e32 v204, 8, v204                                // 00000000A244: 69999888
	s_nop 0                                                    // 00000000A248: BF800000
	v_cndmask_b32_e64 v72, v35, v72, s[36:37]                  // 00000000A24C: D1000048 00929123
	v_cmp_lt_u32_e64 s[36:37], v205, v36                       // 00000000A254: D0C90024 000249CD
	v_add_u32_e32 v205, 8, v205                                // 00000000A25C: 699B9A88
	s_nop 0                                                    // 00000000A260: BF800000
	v_cndmask_b32_e64 v73, v35, v73, s[36:37]                  // 00000000A264: D1000049 00929323
	v_cmp_lt_u32_e64 s[36:37], v206, v36                       // 00000000A26C: D0C90024 000249CE
	v_add_u32_e32 v206, 8, v206                                // 00000000A274: 699D9C88
	s_nop 0                                                    // 00000000A278: BF800000
	v_cndmask_b32_e64 v74, v35, v74, s[36:37]                  // 00000000A27C: D100004A 00929523
	v_cmp_lt_u32_e64 s[36:37], v207, v36                       // 00000000A284: D0C90024 000249CF
	v_add_u32_e32 v207, 8, v207                                // 00000000A28C: 699F9E88
	s_nop 0                                                    // 00000000A290: BF800000
	v_cndmask_b32_e64 v75, v35, v75, s[36:37]                  // 00000000A294: D100004B 00929723
	s_nop 2                                                    // 00000000A29C: BF800002
	v_mov_b32_e32 v213, v60                                    // 00000000A2A0: 7FAA033C
	v_max3_f32 v213, v60, v61, v213                            // 00000000A2A4: D1D300D5 07567B3C
	v_max3_f32 v213, v62, v63, v213                            // 00000000A2AC: D1D300D5 07567F3E
	v_max3_f32 v213, v64, v65, v213                            // 00000000A2B4: D1D300D5 07568340
	v_max3_f32 v213, v66, v67, v213                            // 00000000A2BC: D1D300D5 07568742
	v_max3_f32 v213, v68, v69, v213                            // 00000000A2C4: D1D300D5 07568B44
	v_max3_f32 v213, v70, v71, v213                            // 00000000A2CC: D1D300D5 07568F46
	v_max3_f32 v213, v72, v73, v213                            // 00000000A2D4: D1D300D5 07569348
	v_max3_f32 v213, v74, v75, v213                            // 00000000A2DC: D1D300D5 0756974A
	v_mov_b32_e32 v35, v213                                    // 00000000A2E4: 7E4603D5
	v_mov_b32_e32 v36, v213                                    // 00000000A2E8: 7E4803D5
	s_nop 1                                                    // 00000000A2EC: BF800001
	v_permlane32_swap_b32_e32 v35, v36                         // 00000000A2F0: 7E46B524
	v_max3_f32 v213, v35, v36, v213                            // 00000000A2F4: D1D300D5 07564923
	ds_write_b32 v41, v213                                     // 00000000A2FC: D81A0000 0000D529
	s_waitcnt lgkmcnt(0)                                       // 00000000A304: BF8CC07F
	s_barrier                                                  // 00000000A308: BF8A0000
	ds_read_b32 v35, v40                                       // 00000000A30C: D86C0000 23000028
	ds_read_b32 v36, v40 offset:256                            // 00000000A314: D86C0100 24000028
	s_waitcnt lgkmcnt(0)                                       // 00000000A31C: BF8CC07F
	v_max3_f32 v213, v35, v36, v213                            // 00000000A320: D1D300D5 07564923
	v_mov_b32_e32 v35, 0xff800000                              // 00000000A328: 7E4602FF FF800000
	v_cmp_eq_u32_e64 s[36:37], v35, v2                         // 00000000A330: D0CA0024 00020523
	v_max_f32_e32 v216, v213, v2                               // 00000000A338: 17B005D5
	v_sub_f32_e32 v21, v2, v216                                // 00000000A33C: 042BB102
	v_cndmask_b32_e64 v21, v21, 0, s[36:37]                    // 00000000A340: D1000015 00910115
	v_mov_b32_e32 v2, v216                                     // 00000000A348: 7E0403D8
	v_mul_f32_e32 v212, s5, v216                               // 00000000A34C: 0BA9B005
	v_mul_f32_e32 v21, s5, v21                                 // 00000000A350: 0A2A2A05
	v_exp_f32_e32 v21, v21                                     // 00000000A354: 7E2A4115
	v_fma_f32 v60, v60, s5, -v212                              // 00000000A358: D1CB003C 87500B3C
	v_fma_f32 v61, v61, s5, -v212                              // 00000000A360: D1CB003D 87500B3D
	v_fma_f32 v62, v62, s5, -v212                              // 00000000A368: D1CB003E 87500B3E
	v_fma_f32 v63, v63, s5, -v212                              // 00000000A370: D1CB003F 87500B3F
	v_fma_f32 v64, v64, s5, -v212                              // 00000000A378: D1CB0040 87500B40
	v_fma_f32 v65, v65, s5, -v212                              // 00000000A380: D1CB0041 87500B41
	v_fma_f32 v66, v66, s5, -v212                              // 00000000A388: D1CB0042 87500B42
	v_fma_f32 v67, v67, s5, -v212                              // 00000000A390: D1CB0043 87500B43
	v_fma_f32 v68, v68, s5, -v212                              // 00000000A398: D1CB0044 87500B44
	v_fma_f32 v69, v69, s5, -v212                              // 00000000A3A0: D1CB0045 87500B45
	v_fma_f32 v70, v70, s5, -v212                              // 00000000A3A8: D1CB0046 87500B46
	v_fma_f32 v71, v71, s5, -v212                              // 00000000A3B0: D1CB0047 87500B47
	v_fma_f32 v72, v72, s5, -v212                              // 00000000A3B8: D1CB0048 87500B48
	v_fma_f32 v73, v73, s5, -v212                              // 00000000A3C0: D1CB0049 87500B49
	v_fma_f32 v74, v74, s5, -v212                              // 00000000A3C8: D1CB004A 87500B4A
	v_fma_f32 v75, v75, s5, -v212                              // 00000000A3D0: D1CB004B 87500B4B
	v_mov_b32_e32 v35, 0xffc00000                              // 00000000A3D8: 7E4602FF FFC00000
	v_exp_f32_e32 v60, v60                                     // 00000000A3E0: 7E78413C
	v_exp_f32_e32 v61, v61                                     // 00000000A3E4: 7E7A413D
	v_exp_f32_e32 v62, v62                                     // 00000000A3E8: 7E7C413E
	v_exp_f32_e32 v63, v63                                     // 00000000A3EC: 7E7E413F
	v_exp_f32_e32 v64, v64                                     // 00000000A3F0: 7E804140
	v_exp_f32_e32 v65, v65                                     // 00000000A3F4: 7E824141
	v_exp_f32_e32 v66, v66                                     // 00000000A3F8: 7E844142
	v_exp_f32_e32 v67, v67                                     // 00000000A3FC: 7E864143
	v_exp_f32_e32 v68, v68                                     // 00000000A400: 7E884144
	v_exp_f32_e32 v69, v69                                     // 00000000A404: 7E8A4145
	v_exp_f32_e32 v70, v70                                     // 00000000A408: 7E8C4146
	v_exp_f32_e32 v71, v71                                     // 00000000A40C: 7E8E4147
	v_exp_f32_e32 v72, v72                                     // 00000000A410: 7E904148
	v_exp_f32_e32 v73, v73                                     // 00000000A414: 7E924149
	v_exp_f32_e32 v74, v74                                     // 00000000A418: 7E94414A
	v_exp_f32_e32 v75, v75                                     // 00000000A41C: 7E96414B
	v_mul_f32_e32 v4, v21, v4                                  // 00000000A420: 0A080915
	v_mov_b32_e32 v35, v60                                     // 00000000A424: 7E46033C
	v_add_f32_e32 v35, v61, v35                                // 00000000A428: 0246473D
	v_add_f32_e32 v35, v62, v35                                // 00000000A42C: 0246473E
	v_add_f32_e32 v35, v63, v35                                // 00000000A430: 0246473F
	v_add_f32_e32 v35, v64, v35                                // 00000000A434: 02464740
	v_add_f32_e32 v35, v65, v35                                // 00000000A438: 02464741
	v_add_f32_e32 v35, v66, v35                                // 00000000A43C: 02464742
	v_add_f32_e32 v35, v67, v35                                // 00000000A440: 02464743
	v_add_f32_e32 v35, v68, v35                                // 00000000A444: 02464744
	v_add_f32_e32 v35, v69, v35                                // 00000000A448: 02464745
	v_add_f32_e32 v35, v70, v35                                // 00000000A44C: 02464746
	v_add_f32_e32 v35, v71, v35                                // 00000000A450: 02464747
	v_add_f32_e32 v35, v72, v35                                // 00000000A454: 02464748
	v_add_f32_e32 v35, v73, v35                                // 00000000A458: 02464749
	v_add_f32_e32 v35, v74, v35                                // 00000000A45C: 0246474A
	v_add_f32_e32 v35, v75, v35                                // 00000000A460: 0246474B
	v_add_f32_e32 v4, v35, v4                                  // 00000000A464: 02080923
	v_cvt_pk_fp8_f32 v60, v60, v61                             // 00000000A468: D2A2003C 00027B3C
	v_cvt_pk_fp8_f32 v60, v62, v63 op_sel:[0,0,1]              // 00000000A470: D2A2403C 00027F3E
	v_cvt_pk_fp8_f32 v61, v64, v65                             // 00000000A478: D2A2003D 00028340
	v_cvt_pk_fp8_f32 v61, v66, v67 op_sel:[0,0,1]              // 00000000A480: D2A2403D 00028742
	v_cvt_pk_fp8_f32 v62, v68, v69                             // 00000000A488: D2A2003E 00028B44
	v_cvt_pk_fp8_f32 v62, v70, v71 op_sel:[0,0,1]              // 00000000A490: D2A2403E 00028F46
	v_cvt_pk_fp8_f32 v63, v72, v73                             // 00000000A498: D2A2003F 00029348
	v_cvt_pk_fp8_f32 v63, v74, v75 op_sel:[0,0,1]              // 00000000A4A0: D2A2403F 0002974A
	ds_write_b128 v43, v[60:63] offset:1024                    // 00000000A4A8: D9BE0400 00003C2B
	s_waitcnt lgkmcnt(0)                                       // 00000000A4B0: BF8CC07F
	s_barrier                                                  // 00000000A4B4: BF8A0000
	ds_read_b128 v[60:63], v42 offset:1024                     // 00000000A4B8: D9FE0400 3C00002A
	ds_read_b128 v[64:67], v42 offset:2048                     // 00000000A4C0: D9FE0800 4000002A
	s_waitcnt lgkmcnt(0)                                       // 00000000A4C8: BF8CC07F
	v_permlane32_swap_b32_e32 v60, v62                         // 00000000A4CC: 7E78B53E
	v_permlane32_swap_b32_e32 v61, v63                         // 00000000A4D0: 7E7AB53F
	v_swap_b32 v61, v62                                        // 00000000A4D4: 7E7AA33E
	v_permlane32_swap_b32_e32 v64, v66                         // 00000000A4D8: 7E80B542
	v_permlane32_swap_b32_e32 v65, v67                         // 00000000A4DC: 7E82B543
	v_swap_b32 v65, v66                                        // 00000000A4E0: 7E82A342
	v_mov_b32_e32 v36, v21                                     // 00000000A4E4: 7E480315
	v_mov_b32_e32 v37, v21                                     // 00000000A4E8: 7E4A0315
	v_pk_mul_f32 v[76:77], v[36:37], v[76:77]                  // 00000000A4EC: D3B1404C 18029924
	v_pk_mul_f32 v[78:79], v[36:37], v[78:79]                  // 00000000A4F4: D3B1404E 18029D24
	v_pk_mul_f32 v[80:81], v[36:37], v[80:81]                  // 00000000A4FC: D3B14050 1802A124
	v_pk_mul_f32 v[82:83], v[36:37], v[82:83]                  // 00000000A504: D3B14052 1802A524
	v_pk_mul_f32 v[84:85], v[36:37], v[84:85]                  // 00000000A50C: D3B14054 1802A924
	v_pk_mul_f32 v[86:87], v[36:37], v[86:87]                  // 00000000A514: D3B14056 1802AD24
	v_pk_mul_f32 v[88:89], v[36:37], v[88:89]                  // 00000000A51C: D3B14058 1802B124
	v_pk_mul_f32 v[90:91], v[36:37], v[90:91]                  // 00000000A524: D3B1405A 1802B524
	v_pk_mul_f32 v[92:93], v[36:37], v[92:93]                  // 00000000A52C: D3B1405C 1802B924
	v_pk_mul_f32 v[94:95], v[36:37], v[94:95]                  // 00000000A534: D3B1405E 1802BD24
	v_pk_mul_f32 v[96:97], v[36:37], v[96:97]                  // 00000000A53C: D3B14060 1802C124
	v_pk_mul_f32 v[98:99], v[36:37], v[98:99]                  // 00000000A544: D3B14062 1802C524
	v_pk_mul_f32 v[100:101], v[36:37], v[100:101]              // 00000000A54C: D3B14064 1802C924
	v_pk_mul_f32 v[102:103], v[36:37], v[102:103]              // 00000000A554: D3B14066 1802CD24
	v_pk_mul_f32 v[104:105], v[36:37], v[104:105]              // 00000000A55C: D3B14068 1802D124
	v_pk_mul_f32 v[106:107], v[36:37], v[106:107]              // 00000000A564: D3B1406A 1802D524
	v_pk_mul_f32 v[108:109], v[36:37], v[108:109]              // 00000000A56C: D3B1406C 1802D924
	v_pk_mul_f32 v[110:111], v[36:37], v[110:111]              // 00000000A574: D3B1406E 1802DD24
	v_pk_mul_f32 v[112:113], v[36:37], v[112:113]              // 00000000A57C: D3B14070 1802E124
	v_pk_mul_f32 v[114:115], v[36:37], v[114:115]              // 00000000A584: D3B14072 1802E524
	v_pk_mul_f32 v[116:117], v[36:37], v[116:117]              // 00000000A58C: D3B14074 1802E924
	v_pk_mul_f32 v[118:119], v[36:37], v[118:119]              // 00000000A594: D3B14076 1802ED24
	v_pk_mul_f32 v[120:121], v[36:37], v[120:121]              // 00000000A59C: D3B14078 1802F124
	v_pk_mul_f32 v[122:123], v[36:37], v[122:123]              // 00000000A5A4: D3B1407A 1802F524
	v_pk_mul_f32 v[124:125], v[36:37], v[124:125]              // 00000000A5AC: D3B1407C 1802F924
	v_pk_mul_f32 v[126:127], v[36:37], v[126:127]              // 00000000A5B4: D3B1407E 1802FD24
	v_pk_mul_f32 v[128:129], v[36:37], v[128:129]              // 00000000A5BC: D3B14080 18030124
	v_pk_mul_f32 v[130:131], v[36:37], v[130:131]              // 00000000A5C4: D3B14082 18030524
	v_pk_mul_f32 v[132:133], v[36:37], v[132:133]              // 00000000A5CC: D3B14084 18030924
	v_pk_mul_f32 v[134:135], v[36:37], v[134:135]              // 00000000A5D4: D3B14086 18030D24
	v_pk_mul_f32 v[136:137], v[36:37], v[136:137]              // 00000000A5DC: D3B14088 18031124
	v_pk_mul_f32 v[138:139], v[36:37], v[138:139]              // 00000000A5E4: D3B1408A 18031524
	v_pk_mul_f32 v[140:141], v[36:37], v[140:141]              // 00000000A5EC: D3B1408C 18031924
	v_pk_mul_f32 v[142:143], v[36:37], v[142:143]              // 00000000A5F4: D3B1408E 18031D24
	v_pk_mul_f32 v[144:145], v[36:37], v[144:145]              // 00000000A5FC: D3B14090 18032124
	v_pk_mul_f32 v[146:147], v[36:37], v[146:147]              // 00000000A604: D3B14092 18032524
	v_pk_mul_f32 v[148:149], v[36:37], v[148:149]              // 00000000A60C: D3B14094 18032924
	v_pk_mul_f32 v[150:151], v[36:37], v[150:151]              // 00000000A614: D3B14096 18032D24
	v_pk_mul_f32 v[152:153], v[36:37], v[152:153]              // 00000000A61C: D3B14098 18033124
	v_pk_mul_f32 v[154:155], v[36:37], v[154:155]              // 00000000A624: D3B1409A 18033524
	v_pk_mul_f32 v[156:157], v[36:37], v[156:157]              // 00000000A62C: D3B1409C 18033924
	v_pk_mul_f32 v[158:159], v[36:37], v[158:159]              // 00000000A634: D3B1409E 18033D24
	v_pk_mul_f32 v[160:161], v[36:37], v[160:161]              // 00000000A63C: D3B140A0 18034124
	v_pk_mul_f32 v[162:163], v[36:37], v[162:163]              // 00000000A644: D3B140A2 18034524
	v_pk_mul_f32 v[164:165], v[36:37], v[164:165]              // 00000000A64C: D3B140A4 18034924
	v_pk_mul_f32 v[166:167], v[36:37], v[166:167]              // 00000000A654: D3B140A6 18034D24
	v_pk_mul_f32 v[168:169], v[36:37], v[168:169]              // 00000000A65C: D3B140A8 18035124
	v_pk_mul_f32 v[170:171], v[36:37], v[170:171]              // 00000000A664: D3B140AA 18035524
	v_pk_mul_f32 v[172:173], v[36:37], v[172:173]              // 00000000A66C: D3B140AC 18035924
	v_pk_mul_f32 v[174:175], v[36:37], v[174:175]              // 00000000A674: D3B140AE 18035D24
	v_pk_mul_f32 v[176:177], v[36:37], v[176:177]              // 00000000A67C: D3B140B0 18036124
	v_pk_mul_f32 v[178:179], v[36:37], v[178:179]              // 00000000A684: D3B140B2 18036524
	v_pk_mul_f32 v[180:181], v[36:37], v[180:181]              // 00000000A68C: D3B140B4 18036924
	v_pk_mul_f32 v[182:183], v[36:37], v[182:183]              // 00000000A694: D3B140B6 18036D24
	v_pk_mul_f32 v[184:185], v[36:37], v[184:185]              // 00000000A69C: D3B140B8 18037124
	v_pk_mul_f32 v[186:187], v[36:37], v[186:187]              // 00000000A6A4: D3B140BA 18037524
	v_pk_mul_f32 v[188:189], v[36:37], v[188:189]              // 00000000A6AC: D3B140BC 18037924
	v_pk_mul_f32 v[190:191], v[36:37], v[190:191]              // 00000000A6B4: D3B140BE 18037D24
	v_pk_mul_f32 v[192:193], v[36:37], v[192:193]              // 00000000A6BC: D3B140C0 18038124
	v_pk_mul_f32 v[194:195], v[36:37], v[194:195]              // 00000000A6C4: D3B140C2 18038524
	v_pk_mul_f32 v[196:197], v[36:37], v[196:197]              // 00000000A6CC: D3B140C4 18038924
	v_pk_mul_f32 v[198:199], v[36:37], v[198:199]              // 00000000A6D4: D3B140C6 18038D24
	v_pk_mul_f32 v[200:201], v[36:37], v[200:201]              // 00000000A6DC: D3B140C8 18039124
	v_pk_mul_f32 v[202:203], v[36:37], v[202:203]              // 00000000A6E4: D3B140CA 18039524
	v_mfma_f32_32x32x64_f8f6f4 v[76:91], a[72:79], v[60:67], v[76:91]// 00000000A6EC: D3AE004C 0D327948
	v_mfma_f32_32x32x64_f8f6f4 v[92:107], a[80:87], v[60:67], v[92:107]// 00000000A6F4: D3AE005C 0D727950
	v_mfma_f32_32x32x64_f8f6f4 v[108:123], a[88:95], v[60:67], v[108:123]// 00000000A6FC: D3AE006C 0DB27958
	v_mfma_f32_32x32x64_f8f6f4 v[124:139], a[96:103], v[60:67], v[124:139]// 00000000A704: D3AE007C 0DF27960
	v_mfma_f32_32x32x64_f8f6f4 v[140:155], a[104:111], v[60:67], v[140:155]// 00000000A70C: D3AE008C 0E327968
	v_mfma_f32_32x32x64_f8f6f4 v[156:171], a[112:119], v[60:67], v[156:171]// 00000000A714: D3AE009C 0E727970
	v_mfma_f32_32x32x64_f8f6f4 v[172:187], a[120:127], v[60:67], v[172:187]// 00000000A71C: D3AE00AC 0EB27978
	v_mfma_f32_32x32x64_f8f6f4 v[188:203], a[128:135], v[60:67], v[188:203]// 00000000A724: D3AE00BC 0EF27980
	s_nop 8                                                    // 00000000A72C: BF800008
	s_branch label_8AD0                                        // 00000000A730: BF8201E7

000000000000a734 <label_8334>:
	s_waitcnt lgkmcnt(4)                                       // 00000000A734: BF8CC47F
	v_mfma_f32_32x32x64_f8f6f4 v[44:59], a[72:79], a[0:7], 0   // 00000000A738: D3AE002C 1A020148
	v_mfma_f32_32x32x64_f8f6f4 v[44:59], a[80:87], a[8:15], v[44:59]// 00000000A740: D3AE002C 1CB21150
	v_mfma_f32_32x32x64_f8f6f4 v[44:59], a[88:95], a[16:23], v[44:59]// 00000000A748: D3AE002C 1CB22158
	ds_read_b64_tr_b8 a[72:73], v9                             // 00000000A750: DBC40000 48000009
	ds_read_b64_tr_b8 a[74:75], v10                            // 00000000A758: DBC40000 4A00000A
	ds_read_b64_tr_b8 a[76:77], v9 offset:18432                // 00000000A760: DBC44800 4C000009
	ds_read_b64_tr_b8 a[78:79], v10 offset:18432               // 00000000A768: DBC44800 4E00000A
	v_mfma_f32_32x32x64_f8f6f4 v[44:59], a[96:103], a[24:31], v[44:59]// 00000000A770: D3AE002C 1CB23160
	ds_read_b64_tr_b8 a[80:81], v11                            // 00000000A778: DBC40000 5000000B
	ds_read_b64_tr_b8 a[82:83], v12                            // 00000000A780: DBC40000 5200000C
	ds_read_b64_tr_b8 a[84:85], v11 offset:18432               // 00000000A788: DBC44800 5400000B
	ds_read_b64_tr_b8 a[86:87], v12 offset:18432               // 00000000A790: DBC44800 5600000C
	v_mfma_f32_32x32x64_f8f6f4 v[44:59], a[104:111], a[32:39], v[44:59]// 00000000A798: D3AE002C 1CB24168
	ds_read_b64_tr_b8 a[88:89], v9 offset:1024                 // 00000000A7A0: DBC40400 58000009
	ds_read_b64_tr_b8 a[90:91], v10 offset:1024                // 00000000A7A8: DBC40400 5A00000A
	ds_read_b64_tr_b8 a[92:93], v9 offset:19456                // 00000000A7B0: DBC44C00 5C000009
	ds_read_b64_tr_b8 a[94:95], v10 offset:19456               // 00000000A7B8: DBC44C00 5E00000A
	v_mfma_f32_32x32x64_f8f6f4 v[44:59], a[112:119], a[40:47], v[44:59]// 00000000A7C0: D3AE002C 1CB25170
	ds_read_b64_tr_b8 a[96:97], v11 offset:1024                // 00000000A7C8: DBC40400 6000000B
	ds_read_b64_tr_b8 a[98:99], v12 offset:1024                // 00000000A7D0: DBC40400 6200000C
	ds_read_b64_tr_b8 a[100:101], v11 offset:19456             // 00000000A7D8: DBC44C00 6400000B
	ds_read_b64_tr_b8 a[102:103], v12 offset:19456             // 00000000A7E0: DBC44C00 6600000C
	v_mfma_f32_32x32x64_f8f6f4 v[44:59], a[120:127], a[48:55], v[44:59]// 00000000A7E8: D3AE002C 1CB26178
	ds_read_b64_tr_b8 a[104:105], v9 offset:2048               // 00000000A7F0: DBC40800 68000009
	ds_read_b64_tr_b8 a[106:107], v10 offset:2048              // 00000000A7F8: DBC40800 6A00000A
	ds_read_b64_tr_b8 a[108:109], v9 offset:20480              // 00000000A800: DBC45000 6C000009
	ds_read_b64_tr_b8 a[110:111], v10 offset:20480             // 00000000A808: DBC45000 6E00000A
	v_mfma_f32_32x32x64_f8f6f4 v[44:59], a[128:135], a[56:63], v[44:59]// 00000000A810: D3AE002C 1CB27180
	ds_read_b64_tr_b8 a[112:113], v11 offset:2048              // 00000000A818: DBC40800 7000000B
	ds_read_b64_tr_b8 a[114:115], v12 offset:2048              // 00000000A820: DBC40800 7200000C
	ds_read_b64_tr_b8 a[116:117], v11 offset:20480             // 00000000A828: DBC45000 7400000B
	ds_read_b64_tr_b8 a[118:119], v12 offset:20480             // 00000000A830: DBC45000 7600000C
	v_mfma_f32_32x32x64_f8f6f4 v[44:59], a[136:143], a[64:71], v[44:59]// 00000000A838: D3AE002C 1CB28188
	ds_read_b64_tr_b8 a[120:121], v9 offset:3072               // 00000000A840: DBC40C00 78000009
	ds_read_b64_tr_b8 a[122:123], v10 offset:3072              // 00000000A848: DBC40C00 7A00000A
	ds_read_b64_tr_b8 a[124:125], v9 offset:21504              // 00000000A850: DBC45400 7C000009
	ds_read_b64_tr_b8 a[126:127], v10 offset:21504             // 00000000A858: DBC45400 7E00000A
	ds_read_b64_tr_b8 a[128:129], v11 offset:3072              // 00000000A860: DBC40C00 8000000B
	ds_read_b64_tr_b8 a[130:131], v12 offset:3072              // 00000000A868: DBC40C00 8200000C
	ds_read_b64_tr_b8 a[132:133], v11 offset:21504             // 00000000A870: DBC45400 8400000B
	ds_read_b64_tr_b8 a[134:135], v12 offset:21504             // 00000000A878: DBC45400 8600000C
	s_and_b32 s56, s48, 0xff                                   // 00000000A880: 8638FF30 000000FF
	v_mov_b32_e32 v36, s56                                     // 00000000A888: 7E480238
	v_lshrrev_b32_e32 v204, 5, v0                              // 00000000A88C: 21980085
	v_mul_i32_i24_e32 v204, 4, v204                            // 00000000A890: 0D999884
	s_and_b32 s56, s7, 1                                       // 00000000A894: 86388107
	s_mov_b32 s57, 32                                          // 00000000A898: BEB900A0
	s_mul_i32 s56, s57, s56                                    // 00000000A89C: 92383839
	v_add_u32_e32 v204, s56, v204                              // 00000000A8A0: 69999838
	v_add_u32_e32 v205, 1, v204                                // 00000000A8A4: 699B9881
	v_add_u32_e32 v206, 2, v204                                // 00000000A8A8: 699D9882
	v_add_u32_e32 v207, 3, v204                                // 00000000A8AC: 699F9883
	v_mov_b32_e32 v35, 0xff800000                              // 00000000A8B0: 7E4602FF FF800000
	v_cmp_lt_u32_e64 s[36:37], v204, v36                       // 00000000A8B8: D0C90024 000249CC
	v_add_u32_e32 v204, 8, v204                                // 00000000A8C0: 69999888
	s_nop 0                                                    // 00000000A8C4: BF800000
	v_cndmask_b32_e64 v44, v35, v44, s[36:37]                  // 00000000A8C8: D100002C 00925923
	v_cmp_lt_u32_e64 s[36:37], v205, v36                       // 00000000A8D0: D0C90024 000249CD
	v_add_u32_e32 v205, 8, v205                                // 00000000A8D8: 699B9A88
	s_nop 0                                                    // 00000000A8DC: BF800000
	v_cndmask_b32_e64 v45, v35, v45, s[36:37]                  // 00000000A8E0: D100002D 00925B23
	v_cmp_lt_u32_e64 s[36:37], v206, v36                       // 00000000A8E8: D0C90024 000249CE
	v_add_u32_e32 v206, 8, v206                                // 00000000A8F0: 699D9C88
	s_nop 0                                                    // 00000000A8F4: BF800000
	v_cndmask_b32_e64 v46, v35, v46, s[36:37]                  // 00000000A8F8: D100002E 00925D23
	v_cmp_lt_u32_e64 s[36:37], v207, v36                       // 00000000A900: D0C90024 000249CF
	v_add_u32_e32 v207, 8, v207                                // 00000000A908: 699F9E88
	s_nop 0                                                    // 00000000A90C: BF800000
	v_cndmask_b32_e64 v47, v35, v47, s[36:37]                  // 00000000A910: D100002F 00925F23
	v_cmp_lt_u32_e64 s[36:37], v204, v36                       // 00000000A918: D0C90024 000249CC
	v_add_u32_e32 v204, 8, v204                                // 00000000A920: 69999888
	s_nop 0                                                    // 00000000A924: BF800000
	v_cndmask_b32_e64 v48, v35, v48, s[36:37]                  // 00000000A928: D1000030 00926123
	v_cmp_lt_u32_e64 s[36:37], v205, v36                       // 00000000A930: D0C90024 000249CD
	v_add_u32_e32 v205, 8, v205                                // 00000000A938: 699B9A88
	s_nop 0                                                    // 00000000A93C: BF800000
	v_cndmask_b32_e64 v49, v35, v49, s[36:37]                  // 00000000A940: D1000031 00926323
	v_cmp_lt_u32_e64 s[36:37], v206, v36                       // 00000000A948: D0C90024 000249CE
	v_add_u32_e32 v206, 8, v206                                // 00000000A950: 699D9C88
	s_nop 0                                                    // 00000000A954: BF800000
	v_cndmask_b32_e64 v50, v35, v50, s[36:37]                  // 00000000A958: D1000032 00926523
	v_cmp_lt_u32_e64 s[36:37], v207, v36                       // 00000000A960: D0C90024 000249CF
	v_add_u32_e32 v207, 8, v207                                // 00000000A968: 699F9E88
	s_nop 0                                                    // 00000000A96C: BF800000
	v_cndmask_b32_e64 v51, v35, v51, s[36:37]                  // 00000000A970: D1000033 00926723
	v_cmp_lt_u32_e64 s[36:37], v204, v36                       // 00000000A978: D0C90024 000249CC
	v_add_u32_e32 v204, 8, v204                                // 00000000A980: 69999888
	s_nop 0                                                    // 00000000A984: BF800000
	v_cndmask_b32_e64 v52, v35, v52, s[36:37]                  // 00000000A988: D1000034 00926923
	v_cmp_lt_u32_e64 s[36:37], v205, v36                       // 00000000A990: D0C90024 000249CD
	v_add_u32_e32 v205, 8, v205                                // 00000000A998: 699B9A88
	s_nop 0                                                    // 00000000A99C: BF800000
	v_cndmask_b32_e64 v53, v35, v53, s[36:37]                  // 00000000A9A0: D1000035 00926B23
	v_cmp_lt_u32_e64 s[36:37], v206, v36                       // 00000000A9A8: D0C90024 000249CE
	v_add_u32_e32 v206, 8, v206                                // 00000000A9B0: 699D9C88
	s_nop 0                                                    // 00000000A9B4: BF800000
	v_cndmask_b32_e64 v54, v35, v54, s[36:37]                  // 00000000A9B8: D1000036 00926D23
	v_cmp_lt_u32_e64 s[36:37], v207, v36                       // 00000000A9C0: D0C90024 000249CF
	v_add_u32_e32 v207, 8, v207                                // 00000000A9C8: 699F9E88
	s_nop 0                                                    // 00000000A9CC: BF800000
	v_cndmask_b32_e64 v55, v35, v55, s[36:37]                  // 00000000A9D0: D1000037 00926F23
	v_cmp_lt_u32_e64 s[36:37], v204, v36                       // 00000000A9D8: D0C90024 000249CC
	v_add_u32_e32 v204, 8, v204                                // 00000000A9E0: 69999888
	s_nop 0                                                    // 00000000A9E4: BF800000
	v_cndmask_b32_e64 v56, v35, v56, s[36:37]                  // 00000000A9E8: D1000038 00927123
	v_cmp_lt_u32_e64 s[36:37], v205, v36                       // 00000000A9F0: D0C90024 000249CD
	v_add_u32_e32 v205, 8, v205                                // 00000000A9F8: 699B9A88
	s_nop 0                                                    // 00000000A9FC: BF800000
	v_cndmask_b32_e64 v57, v35, v57, s[36:37]                  // 00000000AA00: D1000039 00927323
	v_cmp_lt_u32_e64 s[36:37], v206, v36                       // 00000000AA08: D0C90024 000249CE
	v_add_u32_e32 v206, 8, v206                                // 00000000AA10: 699D9C88
	s_nop 0                                                    // 00000000AA14: BF800000
	v_cndmask_b32_e64 v58, v35, v58, s[36:37]                  // 00000000AA18: D100003A 00927523
	v_cmp_lt_u32_e64 s[36:37], v207, v36                       // 00000000AA20: D0C90024 000249CF
	v_add_u32_e32 v207, 8, v207                                // 00000000AA28: 699F9E88
	s_nop 0                                                    // 00000000AA2C: BF800000
	v_cndmask_b32_e64 v59, v35, v59, s[36:37]                  // 00000000AA30: D100003B 00927723
	s_nop 2                                                    // 00000000AA38: BF800002
	v_mov_b32_e32 v213, v44                                    // 00000000AA3C: 7FAA032C
	v_max3_f32 v213, v44, v45, v213                            // 00000000AA40: D1D300D5 07565B2C
	v_max3_f32 v213, v46, v47, v213                            // 00000000AA48: D1D300D5 07565F2E
	v_max3_f32 v213, v48, v49, v213                            // 00000000AA50: D1D300D5 07566330
	v_max3_f32 v213, v50, v51, v213                            // 00000000AA58: D1D300D5 07566732
	v_max3_f32 v213, v52, v53, v213                            // 00000000AA60: D1D300D5 07566B34
	v_max3_f32 v213, v54, v55, v213                            // 00000000AA68: D1D300D5 07566F36
	v_max3_f32 v213, v56, v57, v213                            // 00000000AA70: D1D300D5 07567338
	v_max3_f32 v213, v58, v59, v213                            // 00000000AA78: D1D300D5 0756773A
	v_mov_b32_e32 v35, v213                                    // 00000000AA80: 7E4603D5
	v_mov_b32_e32 v36, v213                                    // 00000000AA84: 7E4803D5
	s_nop 1                                                    // 00000000AA88: BF800001
	v_permlane32_swap_b32_e32 v35, v36                         // 00000000AA8C: 7E46B524
	v_max3_f32 v213, v35, v36, v213                            // 00000000AA90: D1D300D5 07564923
	ds_write_b32 v41, v213                                     // 00000000AA98: D81A0000 0000D529
	s_waitcnt lgkmcnt(0)                                       // 00000000AAA0: BF8CC07F
	s_barrier                                                  // 00000000AAA4: BF8A0000
	ds_read_b32 v35, v40                                       // 00000000AAA8: D86C0000 23000028
	ds_read_b32 v36, v40 offset:256                            // 00000000AAB0: D86C0100 24000028
	s_waitcnt lgkmcnt(0)                                       // 00000000AAB8: BF8CC07F
	v_max3_f32 v213, v35, v36, v213                            // 00000000AABC: D1D300D5 07564923
	v_mov_b32_e32 v35, 0xff800000                              // 00000000AAC4: 7E4602FF FF800000
	v_cmp_eq_u32_e64 s[36:37], v35, v2                         // 00000000AACC: D0CA0024 00020523
	v_max_f32_e32 v216, v213, v2                               // 00000000AAD4: 17B005D5
	v_sub_f32_e32 v21, v2, v216                                // 00000000AAD8: 042BB102
	v_cndmask_b32_e64 v21, v21, 0, s[36:37]                    // 00000000AADC: D1000015 00910115
	v_mov_b32_e32 v2, v216                                     // 00000000AAE4: 7E0403D8
	v_mul_f32_e32 v212, s5, v216                               // 00000000AAE8: 0BA9B005
	v_mul_f32_e32 v21, s5, v21                                 // 00000000AAEC: 0A2A2A05
	v_exp_f32_e32 v21, v21                                     // 00000000AAF0: 7E2A4115
	v_fma_f32 v44, v44, s5, -v212                              // 00000000AAF4: D1CB002C 87500B2C
	v_fma_f32 v45, v45, s5, -v212                              // 00000000AAFC: D1CB002D 87500B2D
	v_fma_f32 v46, v46, s5, -v212                              // 00000000AB04: D1CB002E 87500B2E
	v_fma_f32 v47, v47, s5, -v212                              // 00000000AB0C: D1CB002F 87500B2F
	v_fma_f32 v48, v48, s5, -v212                              // 00000000AB14: D1CB0030 87500B30
	v_fma_f32 v49, v49, s5, -v212                              // 00000000AB1C: D1CB0031 87500B31
	v_fma_f32 v50, v50, s5, -v212                              // 00000000AB24: D1CB0032 87500B32
	v_fma_f32 v51, v51, s5, -v212                              // 00000000AB2C: D1CB0033 87500B33
	v_fma_f32 v52, v52, s5, -v212                              // 00000000AB34: D1CB0034 87500B34
	v_fma_f32 v53, v53, s5, -v212                              // 00000000AB3C: D1CB0035 87500B35
	v_fma_f32 v54, v54, s5, -v212                              // 00000000AB44: D1CB0036 87500B36
	v_fma_f32 v55, v55, s5, -v212                              // 00000000AB4C: D1CB0037 87500B37
	v_fma_f32 v56, v56, s5, -v212                              // 00000000AB54: D1CB0038 87500B38
	v_fma_f32 v57, v57, s5, -v212                              // 00000000AB5C: D1CB0039 87500B39
	v_fma_f32 v58, v58, s5, -v212                              // 00000000AB64: D1CB003A 87500B3A
	v_fma_f32 v59, v59, s5, -v212                              // 00000000AB6C: D1CB003B 87500B3B
	v_mov_b32_e32 v35, 0xffc00000                              // 00000000AB74: 7E4602FF FFC00000
	v_exp_f32_e32 v44, v44                                     // 00000000AB7C: 7E58412C
	v_exp_f32_e32 v45, v45                                     // 00000000AB80: 7E5A412D
	v_exp_f32_e32 v46, v46                                     // 00000000AB84: 7E5C412E
	v_exp_f32_e32 v47, v47                                     // 00000000AB88: 7E5E412F
	v_exp_f32_e32 v48, v48                                     // 00000000AB8C: 7E604130
	v_exp_f32_e32 v49, v49                                     // 00000000AB90: 7E624131
	v_exp_f32_e32 v50, v50                                     // 00000000AB94: 7E644132
	v_exp_f32_e32 v51, v51                                     // 00000000AB98: 7E664133
	v_exp_f32_e32 v52, v52                                     // 00000000AB9C: 7E684134
	v_exp_f32_e32 v53, v53                                     // 00000000ABA0: 7E6A4135
	v_exp_f32_e32 v54, v54                                     // 00000000ABA4: 7E6C4136
	v_exp_f32_e32 v55, v55                                     // 00000000ABA8: 7E6E4137
	v_exp_f32_e32 v56, v56                                     // 00000000ABAC: 7E704138
	v_exp_f32_e32 v57, v57                                     // 00000000ABB0: 7E724139
	v_exp_f32_e32 v58, v58                                     // 00000000ABB4: 7E74413A
	v_exp_f32_e32 v59, v59                                     // 00000000ABB8: 7E76413B
	v_mul_f32_e32 v4, v21, v4                                  // 00000000ABBC: 0A080915
	v_mov_b32_e32 v35, v44                                     // 00000000ABC0: 7E46032C
	v_add_f32_e32 v35, v45, v35                                // 00000000ABC4: 0246472D
	v_add_f32_e32 v35, v46, v35                                // 00000000ABC8: 0246472E
	v_add_f32_e32 v35, v47, v35                                // 00000000ABCC: 0246472F
	v_add_f32_e32 v35, v48, v35                                // 00000000ABD0: 02464730
	v_add_f32_e32 v35, v49, v35                                // 00000000ABD4: 02464731
	v_add_f32_e32 v35, v50, v35                                // 00000000ABD8: 02464732
	v_add_f32_e32 v35, v51, v35                                // 00000000ABDC: 02464733
	v_add_f32_e32 v35, v52, v35                                // 00000000ABE0: 02464734
	v_add_f32_e32 v35, v53, v35                                // 00000000ABE4: 02464735
	v_add_f32_e32 v35, v54, v35                                // 00000000ABE8: 02464736
	v_add_f32_e32 v35, v55, v35                                // 00000000ABEC: 02464737
	v_add_f32_e32 v35, v56, v35                                // 00000000ABF0: 02464738
	v_add_f32_e32 v35, v57, v35                                // 00000000ABF4: 02464739
	v_add_f32_e32 v35, v58, v35                                // 00000000ABF8: 0246473A
	v_add_f32_e32 v35, v59, v35                                // 00000000ABFC: 0246473B
	v_add_f32_e32 v4, v35, v4                                  // 00000000AC00: 02080923
	v_cvt_pk_fp8_f32 v44, v44, v45                             // 00000000AC04: D2A2002C 00025B2C
	v_cvt_pk_fp8_f32 v44, v46, v47 op_sel:[0,0,1]              // 00000000AC0C: D2A2402C 00025F2E
	v_cvt_pk_fp8_f32 v45, v48, v49                             // 00000000AC14: D2A2002D 00026330
	v_cvt_pk_fp8_f32 v45, v50, v51 op_sel:[0,0,1]              // 00000000AC1C: D2A2402D 00026732
	v_cvt_pk_fp8_f32 v46, v52, v53                             // 00000000AC24: D2A2002E 00026B34
	v_cvt_pk_fp8_f32 v46, v54, v55 op_sel:[0,0,1]              // 00000000AC2C: D2A2402E 00026F36
	v_cvt_pk_fp8_f32 v47, v56, v57                             // 00000000AC34: D2A2002F 00027338
	v_cvt_pk_fp8_f32 v47, v58, v59 op_sel:[0,0,1]              // 00000000AC3C: D2A2402F 0002773A
	ds_write_b128 v43, v[44:47] offset:1024                    // 00000000AC44: D9BE0400 00002C2B
	s_waitcnt lgkmcnt(0)                                       // 00000000AC4C: BF8CC07F
	s_barrier                                                  // 00000000AC50: BF8A0000
	ds_read_b128 v[44:47], v42 offset:1024                     // 00000000AC54: D9FE0400 2C00002A
	ds_read_b128 v[48:51], v42 offset:2048                     // 00000000AC5C: D9FE0800 3000002A
	s_waitcnt lgkmcnt(0)                                       // 00000000AC64: BF8CC07F
	v_permlane32_swap_b32_e32 v44, v46                         // 00000000AC68: 7E58B52E
	v_permlane32_swap_b32_e32 v45, v47                         // 00000000AC6C: 7E5AB52F
	v_swap_b32 v45, v46                                        // 00000000AC70: 7E5AA32E
	v_permlane32_swap_b32_e32 v48, v50                         // 00000000AC74: 7E60B532
	v_permlane32_swap_b32_e32 v49, v51                         // 00000000AC78: 7E62B533
	v_swap_b32 v49, v50                                        // 00000000AC7C: 7E62A332
	v_mov_b32_e32 v36, v21                                     // 00000000AC80: 7E480315
	v_mov_b32_e32 v37, v21                                     // 00000000AC84: 7E4A0315
	v_pk_mul_f32 v[76:77], v[36:37], v[76:77]                  // 00000000AC88: D3B1404C 18029924
	v_pk_mul_f32 v[78:79], v[36:37], v[78:79]                  // 00000000AC90: D3B1404E 18029D24
	v_pk_mul_f32 v[80:81], v[36:37], v[80:81]                  // 00000000AC98: D3B14050 1802A124
	v_pk_mul_f32 v[82:83], v[36:37], v[82:83]                  // 00000000ACA0: D3B14052 1802A524
	v_pk_mul_f32 v[84:85], v[36:37], v[84:85]                  // 00000000ACA8: D3B14054 1802A924
	v_pk_mul_f32 v[86:87], v[36:37], v[86:87]                  // 00000000ACB0: D3B14056 1802AD24
	v_pk_mul_f32 v[88:89], v[36:37], v[88:89]                  // 00000000ACB8: D3B14058 1802B124
	v_pk_mul_f32 v[90:91], v[36:37], v[90:91]                  // 00000000ACC0: D3B1405A 1802B524
	v_pk_mul_f32 v[92:93], v[36:37], v[92:93]                  // 00000000ACC8: D3B1405C 1802B924
	v_pk_mul_f32 v[94:95], v[36:37], v[94:95]                  // 00000000ACD0: D3B1405E 1802BD24
	v_pk_mul_f32 v[96:97], v[36:37], v[96:97]                  // 00000000ACD8: D3B14060 1802C124
	v_pk_mul_f32 v[98:99], v[36:37], v[98:99]                  // 00000000ACE0: D3B14062 1802C524
	v_pk_mul_f32 v[100:101], v[36:37], v[100:101]              // 00000000ACE8: D3B14064 1802C924
	v_pk_mul_f32 v[102:103], v[36:37], v[102:103]              // 00000000ACF0: D3B14066 1802CD24
	v_pk_mul_f32 v[104:105], v[36:37], v[104:105]              // 00000000ACF8: D3B14068 1802D124
	v_pk_mul_f32 v[106:107], v[36:37], v[106:107]              // 00000000AD00: D3B1406A 1802D524
	v_pk_mul_f32 v[108:109], v[36:37], v[108:109]              // 00000000AD08: D3B1406C 1802D924
	v_pk_mul_f32 v[110:111], v[36:37], v[110:111]              // 00000000AD10: D3B1406E 1802DD24
	v_pk_mul_f32 v[112:113], v[36:37], v[112:113]              // 00000000AD18: D3B14070 1802E124
	v_pk_mul_f32 v[114:115], v[36:37], v[114:115]              // 00000000AD20: D3B14072 1802E524
	v_pk_mul_f32 v[116:117], v[36:37], v[116:117]              // 00000000AD28: D3B14074 1802E924
	v_pk_mul_f32 v[118:119], v[36:37], v[118:119]              // 00000000AD30: D3B14076 1802ED24
	v_pk_mul_f32 v[120:121], v[36:37], v[120:121]              // 00000000AD38: D3B14078 1802F124
	v_pk_mul_f32 v[122:123], v[36:37], v[122:123]              // 00000000AD40: D3B1407A 1802F524
	v_pk_mul_f32 v[124:125], v[36:37], v[124:125]              // 00000000AD48: D3B1407C 1802F924
	v_pk_mul_f32 v[126:127], v[36:37], v[126:127]              // 00000000AD50: D3B1407E 1802FD24
	v_pk_mul_f32 v[128:129], v[36:37], v[128:129]              // 00000000AD58: D3B14080 18030124
	v_pk_mul_f32 v[130:131], v[36:37], v[130:131]              // 00000000AD60: D3B14082 18030524
	v_pk_mul_f32 v[132:133], v[36:37], v[132:133]              // 00000000AD68: D3B14084 18030924
	v_pk_mul_f32 v[134:135], v[36:37], v[134:135]              // 00000000AD70: D3B14086 18030D24
	v_pk_mul_f32 v[136:137], v[36:37], v[136:137]              // 00000000AD78: D3B14088 18031124
	v_pk_mul_f32 v[138:139], v[36:37], v[138:139]              // 00000000AD80: D3B1408A 18031524
	v_pk_mul_f32 v[140:141], v[36:37], v[140:141]              // 00000000AD88: D3B1408C 18031924
	v_pk_mul_f32 v[142:143], v[36:37], v[142:143]              // 00000000AD90: D3B1408E 18031D24
	v_pk_mul_f32 v[144:145], v[36:37], v[144:145]              // 00000000AD98: D3B14090 18032124
	v_pk_mul_f32 v[146:147], v[36:37], v[146:147]              // 00000000ADA0: D3B14092 18032524
	v_pk_mul_f32 v[148:149], v[36:37], v[148:149]              // 00000000ADA8: D3B14094 18032924
	v_pk_mul_f32 v[150:151], v[36:37], v[150:151]              // 00000000ADB0: D3B14096 18032D24
	v_pk_mul_f32 v[152:153], v[36:37], v[152:153]              // 00000000ADB8: D3B14098 18033124
	v_pk_mul_f32 v[154:155], v[36:37], v[154:155]              // 00000000ADC0: D3B1409A 18033524
	v_pk_mul_f32 v[156:157], v[36:37], v[156:157]              // 00000000ADC8: D3B1409C 18033924
	v_pk_mul_f32 v[158:159], v[36:37], v[158:159]              // 00000000ADD0: D3B1409E 18033D24
	v_pk_mul_f32 v[160:161], v[36:37], v[160:161]              // 00000000ADD8: D3B140A0 18034124
	v_pk_mul_f32 v[162:163], v[36:37], v[162:163]              // 00000000ADE0: D3B140A2 18034524
	v_pk_mul_f32 v[164:165], v[36:37], v[164:165]              // 00000000ADE8: D3B140A4 18034924
	v_pk_mul_f32 v[166:167], v[36:37], v[166:167]              // 00000000ADF0: D3B140A6 18034D24
	v_pk_mul_f32 v[168:169], v[36:37], v[168:169]              // 00000000ADF8: D3B140A8 18035124
	v_pk_mul_f32 v[170:171], v[36:37], v[170:171]              // 00000000AE00: D3B140AA 18035524
	v_pk_mul_f32 v[172:173], v[36:37], v[172:173]              // 00000000AE08: D3B140AC 18035924
	v_pk_mul_f32 v[174:175], v[36:37], v[174:175]              // 00000000AE10: D3B140AE 18035D24
	v_pk_mul_f32 v[176:177], v[36:37], v[176:177]              // 00000000AE18: D3B140B0 18036124
	v_pk_mul_f32 v[178:179], v[36:37], v[178:179]              // 00000000AE20: D3B140B2 18036524
	v_pk_mul_f32 v[180:181], v[36:37], v[180:181]              // 00000000AE28: D3B140B4 18036924
	v_pk_mul_f32 v[182:183], v[36:37], v[182:183]              // 00000000AE30: D3B140B6 18036D24
	v_pk_mul_f32 v[184:185], v[36:37], v[184:185]              // 00000000AE38: D3B140B8 18037124
	v_pk_mul_f32 v[186:187], v[36:37], v[186:187]              // 00000000AE40: D3B140BA 18037524
	v_pk_mul_f32 v[188:189], v[36:37], v[188:189]              // 00000000AE48: D3B140BC 18037924
	v_pk_mul_f32 v[190:191], v[36:37], v[190:191]              // 00000000AE50: D3B140BE 18037D24
	v_pk_mul_f32 v[192:193], v[36:37], v[192:193]              // 00000000AE58: D3B140C0 18038124
	v_pk_mul_f32 v[194:195], v[36:37], v[194:195]              // 00000000AE60: D3B140C2 18038524
	v_pk_mul_f32 v[196:197], v[36:37], v[196:197]              // 00000000AE68: D3B140C4 18038924
	v_pk_mul_f32 v[198:199], v[36:37], v[198:199]              // 00000000AE70: D3B140C6 18038D24
	v_pk_mul_f32 v[200:201], v[36:37], v[200:201]              // 00000000AE78: D3B140C8 18039124
	v_pk_mul_f32 v[202:203], v[36:37], v[202:203]              // 00000000AE80: D3B140CA 18039524
	v_mfma_f32_32x32x64_f8f6f4 v[76:91], a[72:79], v[44:51], v[76:91]// 00000000AE88: D3AE004C 0D325948
	v_mfma_f32_32x32x64_f8f6f4 v[92:107], a[80:87], v[44:51], v[92:107]// 00000000AE90: D3AE005C 0D725950
	v_mfma_f32_32x32x64_f8f6f4 v[108:123], a[88:95], v[44:51], v[108:123]// 00000000AE98: D3AE006C 0DB25958
	v_mfma_f32_32x32x64_f8f6f4 v[124:139], a[96:103], v[44:51], v[124:139]// 00000000AEA0: D3AE007C 0DF25960
	v_mfma_f32_32x32x64_f8f6f4 v[140:155], a[104:111], v[44:51], v[140:155]// 00000000AEA8: D3AE008C 0E325968
	v_mfma_f32_32x32x64_f8f6f4 v[156:171], a[112:119], v[44:51], v[156:171]// 00000000AEB0: D3AE009C 0E725970
	v_mfma_f32_32x32x64_f8f6f4 v[172:187], a[120:127], v[44:51], v[172:187]// 00000000AEB8: D3AE00AC 0EB25978
	v_mfma_f32_32x32x64_f8f6f4 v[188:203], a[128:135], v[44:51], v[188:203]// 00000000AEC0: D3AE00BC 0EF25980
	s_nop 8                                                    // 00000000AEC8: BF800008
	s_branch label_8AD0                                        // 00000000AECC: BF820000

000000000000aed0 <label_8AD0>:
	ds_write_b32 v41, v4                                       // 00000000AED0: D81A0000 00000429
	s_waitcnt lgkmcnt(0)                                       // 00000000AED8: BF8CC07F
	s_barrier                                                  // 00000000AEDC: BF8A0000
	ds_read_b32 v35, v40                                       // 00000000AEE0: D86C0000 23000028
	ds_read_b32 v37, v40 offset:256                            // 00000000AEE8: D86C0100 25000028
	s_waitcnt lgkmcnt(0)                                       // 00000000AEF0: BF8CC07F
	v_mov_b32_e32 v36, v35                                     // 00000000AEF4: 7E480323
	v_mov_b32_e32 v38, v37                                     // 00000000AEF8: 7E4C0325
	s_nop 0                                                    // 00000000AEFC: BF800000
	v_permlane32_swap_b32_e32 v35, v36                         // 00000000AF00: 7E46B524
	v_permlane32_swap_b32_e32 v37, v38                         // 00000000AF04: 7E4AB526
	v_mov_b32_e32 v4, 0                                        // 00000000AF08: 7E080280
	v_add_f32_e32 v4, v35, v4                                  // 00000000AF0C: 02080923
	v_add_f32_e32 v4, v36, v4                                  // 00000000AF10: 02080924
	v_add_f32_e32 v4, v37, v4                                  // 00000000AF14: 02080925
	v_add_f32_e32 v4, v38, v4                                  // 00000000AF18: 02080926
	v_mov_b32_e32 v35, 0                                       // 00000000AF1C: 7E460280
	v_cmp_eq_u32_e64 s[36:37], v35, v4                         // 00000000AF20: D0CA0024 00020923
	v_mul_f32_e64 v35, v2, s64                                 // 00000000AF28: D1050023 00008102
	v_log_f32_e32 v36, v4                                      // 00000000AF30: 7E484304
	s_nop 1                                                    // 00000000AF34: BF800001
	v_rcp_f32_e32 v4, v4                                       // 00000000AF38: 7E084504
	s_nop 1                                                    // 00000000AF3C: BF800001
	v_fma_f32 v218, v36, s63, v35                              // 00000000AF40: D1CB00DA 048C7F24
	v_mul_f32_e32 v4, s61, v4                                  // 00000000AF48: 0A08083D
	v_mov_b32_e32 v44, v4                                      // 00000000AF4C: 7E580304
	v_mov_b32_e32 v45, v4                                      // 00000000AF50: 7E5A0304
	v_pk_mul_f32 v[76:77], v[44:45], v[76:77]                  // 00000000AF54: D3B1404C 1802992C
	v_pk_mul_f32 v[78:79], v[44:45], v[78:79]                  // 00000000AF5C: D3B1404E 18029D2C
	v_pk_mul_f32 v[80:81], v[44:45], v[80:81]                  // 00000000AF64: D3B14050 1802A12C
	v_pk_mul_f32 v[82:83], v[44:45], v[82:83]                  // 00000000AF6C: D3B14052 1802A52C
	v_pk_mul_f32 v[84:85], v[44:45], v[84:85]                  // 00000000AF74: D3B14054 1802A92C
	v_pk_mul_f32 v[86:87], v[44:45], v[86:87]                  // 00000000AF7C: D3B14056 1802AD2C
	v_pk_mul_f32 v[88:89], v[44:45], v[88:89]                  // 00000000AF84: D3B14058 1802B12C
	v_pk_mul_f32 v[90:91], v[44:45], v[90:91]                  // 00000000AF8C: D3B1405A 1802B52C
	v_pk_mul_f32 v[92:93], v[44:45], v[92:93]                  // 00000000AF94: D3B1405C 1802B92C
	v_pk_mul_f32 v[94:95], v[44:45], v[94:95]                  // 00000000AF9C: D3B1405E 1802BD2C
	v_pk_mul_f32 v[96:97], v[44:45], v[96:97]                  // 00000000AFA4: D3B14060 1802C12C
	v_pk_mul_f32 v[98:99], v[44:45], v[98:99]                  // 00000000AFAC: D3B14062 1802C52C
	v_pk_mul_f32 v[100:101], v[44:45], v[100:101]              // 00000000AFB4: D3B14064 1802C92C
	v_pk_mul_f32 v[102:103], v[44:45], v[102:103]              // 00000000AFBC: D3B14066 1802CD2C
	v_pk_mul_f32 v[104:105], v[44:45], v[104:105]              // 00000000AFC4: D3B14068 1802D12C
	v_pk_mul_f32 v[106:107], v[44:45], v[106:107]              // 00000000AFCC: D3B1406A 1802D52C
	v_pk_mul_f32 v[108:109], v[44:45], v[108:109]              // 00000000AFD4: D3B1406C 1802D92C
	v_pk_mul_f32 v[110:111], v[44:45], v[110:111]              // 00000000AFDC: D3B1406E 1802DD2C
	v_pk_mul_f32 v[112:113], v[44:45], v[112:113]              // 00000000AFE4: D3B14070 1802E12C
	v_pk_mul_f32 v[114:115], v[44:45], v[114:115]              // 00000000AFEC: D3B14072 1802E52C
	v_pk_mul_f32 v[116:117], v[44:45], v[116:117]              // 00000000AFF4: D3B14074 1802E92C
	v_pk_mul_f32 v[118:119], v[44:45], v[118:119]              // 00000000AFFC: D3B14076 1802ED2C
	v_pk_mul_f32 v[120:121], v[44:45], v[120:121]              // 00000000B004: D3B14078 1802F12C
	v_pk_mul_f32 v[122:123], v[44:45], v[122:123]              // 00000000B00C: D3B1407A 1802F52C
	v_pk_mul_f32 v[124:125], v[44:45], v[124:125]              // 00000000B014: D3B1407C 1802F92C
	v_pk_mul_f32 v[126:127], v[44:45], v[126:127]              // 00000000B01C: D3B1407E 1802FD2C
	v_pk_mul_f32 v[128:129], v[44:45], v[128:129]              // 00000000B024: D3B14080 1803012C
	v_pk_mul_f32 v[130:131], v[44:45], v[130:131]              // 00000000B02C: D3B14082 1803052C
	v_pk_mul_f32 v[132:133], v[44:45], v[132:133]              // 00000000B034: D3B14084 1803092C
	v_pk_mul_f32 v[134:135], v[44:45], v[134:135]              // 00000000B03C: D3B14086 18030D2C
	v_pk_mul_f32 v[136:137], v[44:45], v[136:137]              // 00000000B044: D3B14088 1803112C
	v_pk_mul_f32 v[138:139], v[44:45], v[138:139]              // 00000000B04C: D3B1408A 1803152C
	v_pk_mul_f32 v[140:141], v[44:45], v[140:141]              // 00000000B054: D3B1408C 1803192C
	v_pk_mul_f32 v[142:143], v[44:45], v[142:143]              // 00000000B05C: D3B1408E 18031D2C
	v_pk_mul_f32 v[144:145], v[44:45], v[144:145]              // 00000000B064: D3B14090 1803212C
	v_pk_mul_f32 v[146:147], v[44:45], v[146:147]              // 00000000B06C: D3B14092 1803252C
	v_pk_mul_f32 v[148:149], v[44:45], v[148:149]              // 00000000B074: D3B14094 1803292C
	v_pk_mul_f32 v[150:151], v[44:45], v[150:151]              // 00000000B07C: D3B14096 18032D2C
	v_pk_mul_f32 v[152:153], v[44:45], v[152:153]              // 00000000B084: D3B14098 1803312C
	v_pk_mul_f32 v[154:155], v[44:45], v[154:155]              // 00000000B08C: D3B1409A 1803352C
	v_pk_mul_f32 v[156:157], v[44:45], v[156:157]              // 00000000B094: D3B1409C 1803392C
	v_pk_mul_f32 v[158:159], v[44:45], v[158:159]              // 00000000B09C: D3B1409E 18033D2C
	v_pk_mul_f32 v[160:161], v[44:45], v[160:161]              // 00000000B0A4: D3B140A0 1803412C
	v_pk_mul_f32 v[162:163], v[44:45], v[162:163]              // 00000000B0AC: D3B140A2 1803452C
	v_pk_mul_f32 v[164:165], v[44:45], v[164:165]              // 00000000B0B4: D3B140A4 1803492C
	v_pk_mul_f32 v[166:167], v[44:45], v[166:167]              // 00000000B0BC: D3B140A6 18034D2C
	v_pk_mul_f32 v[168:169], v[44:45], v[168:169]              // 00000000B0C4: D3B140A8 1803512C
	v_pk_mul_f32 v[170:171], v[44:45], v[170:171]              // 00000000B0CC: D3B140AA 1803552C
	v_pk_mul_f32 v[172:173], v[44:45], v[172:173]              // 00000000B0D4: D3B140AC 1803592C
	v_pk_mul_f32 v[174:175], v[44:45], v[174:175]              // 00000000B0DC: D3B140AE 18035D2C
	v_pk_mul_f32 v[176:177], v[44:45], v[176:177]              // 00000000B0E4: D3B140B0 1803612C
	v_pk_mul_f32 v[178:179], v[44:45], v[178:179]              // 00000000B0EC: D3B140B2 1803652C
	v_pk_mul_f32 v[180:181], v[44:45], v[180:181]              // 00000000B0F4: D3B140B4 1803692C
	v_pk_mul_f32 v[182:183], v[44:45], v[182:183]              // 00000000B0FC: D3B140B6 18036D2C
	v_pk_mul_f32 v[184:185], v[44:45], v[184:185]              // 00000000B104: D3B140B8 1803712C
	v_pk_mul_f32 v[186:187], v[44:45], v[186:187]              // 00000000B10C: D3B140BA 1803752C
	v_pk_mul_f32 v[188:189], v[44:45], v[188:189]              // 00000000B114: D3B140BC 1803792C
	v_pk_mul_f32 v[190:191], v[44:45], v[190:191]              // 00000000B11C: D3B140BE 18037D2C
	v_pk_mul_f32 v[192:193], v[44:45], v[192:193]              // 00000000B124: D3B140C0 1803812C
	v_pk_mul_f32 v[194:195], v[44:45], v[194:195]              // 00000000B12C: D3B140C2 1803852C
	v_pk_mul_f32 v[196:197], v[44:45], v[196:197]              // 00000000B134: D3B140C4 1803892C
	v_pk_mul_f32 v[198:199], v[44:45], v[198:199]              // 00000000B13C: D3B140C6 18038D2C
	v_pk_mul_f32 v[200:201], v[44:45], v[200:201]              // 00000000B144: D3B140C8 1803912C
	v_pk_mul_f32 v[202:203], v[44:45], v[202:203]              // 00000000B14C: D3B140CA 1803952C
	s_cmp_lt_i32 s87, 0                                        // 00000000B154: BF048057
	s_cbranch_scc1 label_9550                                  // 00000000B158: BF8501FD
	s_mul_i32 s75, 0x800, s65                                  // 00000000B15C: 924B41FF 00000800
	s_mul_i32 s56, s87, s75                                    // 00000000B164: 92384B57
	s_add_u32 s8, s56, s8                                      // 00000000B168: 80080838
	s_addc_u32 s9, 0, s9                                       // 00000000B16C: 82090980
	s_mul_i32 s56, s75, s81                                    // 00000000B170: 9238514B
	s_mov_b32 s10, s56                                         // 00000000B174: BE8A0038
	s_mov_b32 s57, 0x10000                                     // 00000000B178: BEB900FF 00010000
	s_lshr_b32 s56, s7, 1                                      // 00000000B180: 8F388107
	s_mul_i32 s56, s56, s57                                    // 00000000B184: 92383938
	s_mov_b32 s58, 0x400                                       // 00000000B188: BEBA00FF 00000400
	s_and_b32 s57, 1, s7                                       // 00000000B190: 86390781
	s_mul_i32 s57, s57, s58                                    // 00000000B194: 92393A39
	s_add_u32 s56, s56, s57                                    // 00000000B198: 80383938
	v_lshrrev_b32_e32 v219, 2, v0                              // 00000000B19C: 21B60082
	s_mov_b32 s57, 0x800                                       // 00000000B1A0: BEB900FF 00000800
	v_mul_i32_i24_e32 v219, s57, v219                          // 00000000B1A8: 0DB7B639
	v_and_b32_e32 v35, 3, v0                                   // 00000000B1AC: 26460083
	v_lshlrev_b32_e32 v35, 4, v35                              // 00000000B1B0: 24464684
	v_add_u32_e32 v219, v35, v219                              // 00000000B1B4: 69B7B723
	v_add_u32_e32 v219, s56, v219                              // 00000000B1B8: 69B7B638
	s_mov_b32 s57, 0x8000                                      // 00000000B1BC: BEB900FF 00008000
	v_add_u32_e32 v220, s57, v219                              // 00000000B1C4: 69B9B639
	s_mul_i32 s57, 4, s65                                      // 00000000B1C8: 92394184
	s_mul_i32 s56, s87, s57                                    // 00000000B1CC: 92383957
	s_add_u32 s12, s56, s12                                    // 00000000B1D0: 800C0C38
	s_addc_u32 s13, 0, s13                                     // 00000000B1D4: 820D0D80
	s_mul_i32 s58, s57, s81                                    // 00000000B1D8: 923A5139
	s_mov_b32 s14, s58                                         // 00000000B1DC: BE8E003A
	v_and_b32_e32 v221, 31, v0                                 // 00000000B1E0: 27BA009F
	v_lshlrev_b32_e32 v221, 2, v221                            // 00000000B1E4: 25BBBA82
	s_mul_i32 s58, 4, 32                                       // 00000000B1E8: 923AA084
	s_lshr_b32 s56, s7, 1                                      // 00000000B1EC: 8F388107
	s_mul_i32 s56, s56, s58                                    // 00000000B1F0: 92383A38
	v_add_u32_e64 v221, v221, s56                              // 00000000B1F4: D13400DD 000071DD
	v_and_b32_e32 v35, 1, v0                                   // 00000000B1FC: 26460081
	v_lshlrev_b32_e32 v35, 5, v35                              // 00000000B200: 24464685
	v_and_b32_e32 v36, 3, v0                                   // 00000000B204: 26480083
	v_lshrrev_b32_e32 v36, 1, v36                              // 00000000B208: 20484881
	v_lshlrev_b32_e32 v36, 4, v36                              // 00000000B20C: 24484884
	v_add_u32_e32 v35, v35, v36                                // 00000000B210: 68464923
	v_lshrrev_b32_e32 v36, 2, v0                               // 00000000B214: 20480082
	v_add_u32_e32 v35, v35, v36                                // 00000000B218: 68464923
	v_lshlrev_b32_e32 v35, 2, v35                              // 00000000B21C: 24464682
	v_lshlrev_b32_e32 v37, 4, v0                               // 00000000B220: 244A0084
	v_permlane16_swap_b32_e32 v76, v80                         // 00000000B224: 7E98B350
	v_permlane16_swap_b32_e32 v77, v81                         // 00000000B228: 7E9AB351
	v_permlane16_swap_b32_e32 v78, v82                         // 00000000B22C: 7E9CB352
	v_permlane16_swap_b32_e32 v79, v83                         // 00000000B230: 7E9EB353
	ds_bpermute_b32 v44, v35, v76                              // 00000000B234: D87E0000 2C004C23
	ds_bpermute_b32 v45, v35, v77                              // 00000000B23C: D87E0000 2D004D23
	ds_bpermute_b32 v46, v35, v78                              // 00000000B244: D87E0000 2E004E23
	ds_bpermute_b32 v47, v35, v79                              // 00000000B24C: D87E0000 2F004F23
	ds_bpermute_b32 v48, v35, v80                              // 00000000B254: D87E0000 30005023
	ds_bpermute_b32 v49, v35, v81                              // 00000000B25C: D87E0000 31005123
	ds_bpermute_b32 v50, v35, v82                              // 00000000B264: D87E0000 32005223
	ds_bpermute_b32 v51, v35, v83                              // 00000000B26C: D87E0000 33005323
	v_permlane16_swap_b32_e32 v84, v88                         // 00000000B274: 7EA8B358
	v_permlane16_swap_b32_e32 v85, v89                         // 00000000B278: 7EAAB359
	v_permlane16_swap_b32_e32 v86, v90                         // 00000000B27C: 7EACB35A
	v_permlane16_swap_b32_e32 v87, v91                         // 00000000B280: 7EAEB35B
	ds_bpermute_b32 v52, v35, v84                              // 00000000B284: D87E0000 34005423
	ds_bpermute_b32 v53, v35, v85                              // 00000000B28C: D87E0000 35005523
	ds_bpermute_b32 v54, v35, v86                              // 00000000B294: D87E0000 36005623
	ds_bpermute_b32 v55, v35, v87                              // 00000000B29C: D87E0000 37005723
	ds_bpermute_b32 v56, v35, v88                              // 00000000B2A4: D87E0000 38005823
	ds_bpermute_b32 v57, v35, v89                              // 00000000B2AC: D87E0000 39005923
	ds_bpermute_b32 v58, v35, v90                              // 00000000B2B4: D87E0000 3A005A23
	ds_bpermute_b32 v59, v35, v91                              // 00000000B2BC: D87E0000 3B005B23
	s_waitcnt lgkmcnt(12)                                      // 00000000B2C4: BF8CCC7F
	buffer_store_dwordx4 v[44:47], v219, s[8:11], 0 offen      // 00000000B2C8: E07C1000 80022CDB
	s_waitcnt lgkmcnt(8)                                       // 00000000B2D0: BF8CC87F
	buffer_store_dwordx4 v[48:51], v220, s[8:11], 0 offen      // 00000000B2D4: E07C1000 800230DC
	s_mov_b32 s56, 64                                          // 00000000B2DC: BEB800C0
	v_add_u32_e32 v219, s56, v219                              // 00000000B2E0: 69B7B638
	v_add_u32_e32 v220, s56, v220                              // 00000000B2E4: 69B9B838
	s_waitcnt lgkmcnt(4)                                       // 00000000B2E8: BF8CC47F
	buffer_store_dwordx4 v[52:55], v219, s[8:11], 0 offen      // 00000000B2EC: E07C1000 800234DB
	s_waitcnt lgkmcnt(0)                                       // 00000000B2F4: BF8CC07F
	buffer_store_dwordx4 v[56:59], v220, s[8:11], 0 offen      // 00000000B2F8: E07C1000 800238DC
	v_add_u32_e32 v219, s56, v219                              // 00000000B300: 69B7B638
	v_add_u32_e32 v220, s56, v220                              // 00000000B304: 69B9B838
	v_permlane16_swap_b32_e32 v92, v96                         // 00000000B308: 7EB8B360
	v_permlane16_swap_b32_e32 v93, v97                         // 00000000B30C: 7EBAB361
	v_permlane16_swap_b32_e32 v94, v98                         // 00000000B310: 7EBCB362
	v_permlane16_swap_b32_e32 v95, v99                         // 00000000B314: 7EBEB363
	ds_bpermute_b32 v44, v35, v92                              // 00000000B318: D87E0000 2C005C23
	ds_bpermute_b32 v45, v35, v93                              // 00000000B320: D87E0000 2D005D23
	ds_bpermute_b32 v46, v35, v94                              // 00000000B328: D87E0000 2E005E23
	ds_bpermute_b32 v47, v35, v95                              // 00000000B330: D87E0000 2F005F23
	ds_bpermute_b32 v48, v35, v96                              // 00000000B338: D87E0000 30006023
	ds_bpermute_b32 v49, v35, v97                              // 00000000B340: D87E0000 31006123
	ds_bpermute_b32 v50, v35, v98                              // 00000000B348: D87E0000 32006223
	ds_bpermute_b32 v51, v35, v99                              // 00000000B350: D87E0000 33006323
	v_permlane16_swap_b32_e32 v100, v104                       // 00000000B358: 7EC8B368
	v_permlane16_swap_b32_e32 v101, v105                       // 00000000B35C: 7ECAB369
	v_permlane16_swap_b32_e32 v102, v106                       // 00000000B360: 7ECCB36A
	v_permlane16_swap_b32_e32 v103, v107                       // 00000000B364: 7ECEB36B
	ds_bpermute_b32 v52, v35, v100                             // 00000000B368: D87E0000 34006423
	ds_bpermute_b32 v53, v35, v101                             // 00000000B370: D87E0000 35006523
	ds_bpermute_b32 v54, v35, v102                             // 00000000B378: D87E0000 36006623
	ds_bpermute_b32 v55, v35, v103                             // 00000000B380: D87E0000 37006723
	ds_bpermute_b32 v56, v35, v104                             // 00000000B388: D87E0000 38006823
	ds_bpermute_b32 v57, v35, v105                             // 00000000B390: D87E0000 39006923
	ds_bpermute_b32 v58, v35, v106                             // 00000000B398: D87E0000 3A006A23
	ds_bpermute_b32 v59, v35, v107                             // 00000000B3A0: D87E0000 3B006B23
	s_waitcnt lgkmcnt(12)                                      // 00000000B3A8: BF8CCC7F
	buffer_store_dwordx4 v[44:47], v219, s[8:11], 0 offen      // 00000000B3AC: E07C1000 80022CDB
	s_waitcnt lgkmcnt(8)                                       // 00000000B3B4: BF8CC87F
	buffer_store_dwordx4 v[48:51], v220, s[8:11], 0 offen      // 00000000B3B8: E07C1000 800230DC
	s_mov_b32 s56, 64                                          // 00000000B3C0: BEB800C0
	v_add_u32_e32 v219, s56, v219                              // 00000000B3C4: 69B7B638
	v_add_u32_e32 v220, s56, v220                              // 00000000B3C8: 69B9B838
	s_waitcnt lgkmcnt(4)                                       // 00000000B3CC: BF8CC47F
	buffer_store_dwordx4 v[52:55], v219, s[8:11], 0 offen      // 00000000B3D0: E07C1000 800234DB
	s_waitcnt lgkmcnt(0)                                       // 00000000B3D8: BF8CC07F
	buffer_store_dwordx4 v[56:59], v220, s[8:11], 0 offen      // 00000000B3DC: E07C1000 800238DC
	v_add_u32_e32 v219, s56, v219                              // 00000000B3E4: 69B7B638
	v_add_u32_e32 v220, s56, v220                              // 00000000B3E8: 69B9B838
	v_permlane16_swap_b32_e32 v108, v112                       // 00000000B3EC: 7ED8B370
	v_permlane16_swap_b32_e32 v109, v113                       // 00000000B3F0: 7EDAB371
	v_permlane16_swap_b32_e32 v110, v114                       // 00000000B3F4: 7EDCB372
	v_permlane16_swap_b32_e32 v111, v115                       // 00000000B3F8: 7EDEB373
	ds_bpermute_b32 v44, v35, v108                             // 00000000B3FC: D87E0000 2C006C23
	ds_bpermute_b32 v45, v35, v109                             // 00000000B404: D87E0000 2D006D23
	ds_bpermute_b32 v46, v35, v110                             // 00000000B40C: D87E0000 2E006E23
	ds_bpermute_b32 v47, v35, v111                             // 00000000B414: D87E0000 2F006F23
	ds_bpermute_b32 v48, v35, v112                             // 00000000B41C: D87E0000 30007023
	ds_bpermute_b32 v49, v35, v113                             // 00000000B424: D87E0000 31007123
	ds_bpermute_b32 v50, v35, v114                             // 00000000B42C: D87E0000 32007223
	ds_bpermute_b32 v51, v35, v115                             // 00000000B434: D87E0000 33007323
	v_permlane16_swap_b32_e32 v116, v120                       // 00000000B43C: 7EE8B378
	v_permlane16_swap_b32_e32 v117, v121                       // 00000000B440: 7EEAB379
	v_permlane16_swap_b32_e32 v118, v122                       // 00000000B444: 7EECB37A
	v_permlane16_swap_b32_e32 v119, v123                       // 00000000B448: 7EEEB37B
	ds_bpermute_b32 v52, v35, v116                             // 00000000B44C: D87E0000 34007423
	ds_bpermute_b32 v53, v35, v117                             // 00000000B454: D87E0000 35007523
	ds_bpermute_b32 v54, v35, v118                             // 00000000B45C: D87E0000 36007623
	ds_bpermute_b32 v55, v35, v119                             // 00000000B464: D87E0000 37007723
	ds_bpermute_b32 v56, v35, v120                             // 00000000B46C: D87E0000 38007823
	ds_bpermute_b32 v57, v35, v121                             // 00000000B474: D87E0000 39007923
	ds_bpermute_b32 v58, v35, v122                             // 00000000B47C: D87E0000 3A007A23
	ds_bpermute_b32 v59, v35, v123                             // 00000000B484: D87E0000 3B007B23
	s_waitcnt lgkmcnt(12)                                      // 00000000B48C: BF8CCC7F
	buffer_store_dwordx4 v[44:47], v219, s[8:11], 0 offen      // 00000000B490: E07C1000 80022CDB
	s_waitcnt lgkmcnt(8)                                       // 00000000B498: BF8CC87F
	buffer_store_dwordx4 v[48:51], v220, s[8:11], 0 offen      // 00000000B49C: E07C1000 800230DC
	s_mov_b32 s56, 64                                          // 00000000B4A4: BEB800C0
	v_add_u32_e32 v219, s56, v219                              // 00000000B4A8: 69B7B638
	v_add_u32_e32 v220, s56, v220                              // 00000000B4AC: 69B9B838
	s_waitcnt lgkmcnt(4)                                       // 00000000B4B0: BF8CC47F
	buffer_store_dwordx4 v[52:55], v219, s[8:11], 0 offen      // 00000000B4B4: E07C1000 800234DB
	s_waitcnt lgkmcnt(0)                                       // 00000000B4BC: BF8CC07F
	buffer_store_dwordx4 v[56:59], v220, s[8:11], 0 offen      // 00000000B4C0: E07C1000 800238DC
	v_add_u32_e32 v219, s56, v219                              // 00000000B4C8: 69B7B638
	v_add_u32_e32 v220, s56, v220                              // 00000000B4CC: 69B9B838
	v_permlane16_swap_b32_e32 v124, v128                       // 00000000B4D0: 7EF8B380
	v_permlane16_swap_b32_e32 v125, v129                       // 00000000B4D4: 7EFAB381
	v_permlane16_swap_b32_e32 v126, v130                       // 00000000B4D8: 7EFCB382
	v_permlane16_swap_b32_e32 v127, v131                       // 00000000B4DC: 7EFEB383
	ds_bpermute_b32 v44, v35, v124                             // 00000000B4E0: D87E0000 2C007C23
	ds_bpermute_b32 v45, v35, v125                             // 00000000B4E8: D87E0000 2D007D23
	ds_bpermute_b32 v46, v35, v126                             // 00000000B4F0: D87E0000 2E007E23
	ds_bpermute_b32 v47, v35, v127                             // 00000000B4F8: D87E0000 2F007F23
	ds_bpermute_b32 v48, v35, v128                             // 00000000B500: D87E0000 30008023
	ds_bpermute_b32 v49, v35, v129                             // 00000000B508: D87E0000 31008123
	ds_bpermute_b32 v50, v35, v130                             // 00000000B510: D87E0000 32008223
	ds_bpermute_b32 v51, v35, v131                             // 00000000B518: D87E0000 33008323
	v_permlane16_swap_b32_e32 v132, v136                       // 00000000B520: 7F08B388
	v_permlane16_swap_b32_e32 v133, v137                       // 00000000B524: 7F0AB389
	v_permlane16_swap_b32_e32 v134, v138                       // 00000000B528: 7F0CB38A
	v_permlane16_swap_b32_e32 v135, v139                       // 00000000B52C: 7F0EB38B
	ds_bpermute_b32 v52, v35, v132                             // 00000000B530: D87E0000 34008423
	ds_bpermute_b32 v53, v35, v133                             // 00000000B538: D87E0000 35008523
	ds_bpermute_b32 v54, v35, v134                             // 00000000B540: D87E0000 36008623
	ds_bpermute_b32 v55, v35, v135                             // 00000000B548: D87E0000 37008723
	ds_bpermute_b32 v56, v35, v136                             // 00000000B550: D87E0000 38008823
	ds_bpermute_b32 v57, v35, v137                             // 00000000B558: D87E0000 39008923
	ds_bpermute_b32 v58, v35, v138                             // 00000000B560: D87E0000 3A008A23
	ds_bpermute_b32 v59, v35, v139                             // 00000000B568: D87E0000 3B008B23
	s_waitcnt lgkmcnt(12)                                      // 00000000B570: BF8CCC7F
	buffer_store_dwordx4 v[44:47], v219, s[8:11], 0 offen      // 00000000B574: E07C1000 80022CDB
	s_waitcnt lgkmcnt(8)                                       // 00000000B57C: BF8CC87F
	buffer_store_dwordx4 v[48:51], v220, s[8:11], 0 offen      // 00000000B580: E07C1000 800230DC
	s_mov_b32 s56, 64                                          // 00000000B588: BEB800C0
	v_add_u32_e32 v219, s56, v219                              // 00000000B58C: 69B7B638
	v_add_u32_e32 v220, s56, v220                              // 00000000B590: 69B9B838
	s_waitcnt lgkmcnt(4)                                       // 00000000B594: BF8CC47F
	buffer_store_dwordx4 v[52:55], v219, s[8:11], 0 offen      // 00000000B598: E07C1000 800234DB
	s_waitcnt lgkmcnt(0)                                       // 00000000B5A0: BF8CC07F
	buffer_store_dwordx4 v[56:59], v220, s[8:11], 0 offen      // 00000000B5A4: E07C1000 800238DC
	v_add_u32_e32 v219, s56, v219                              // 00000000B5AC: 69B7B638
	v_add_u32_e32 v220, s56, v220                              // 00000000B5B0: 69B9B838
	v_permlane16_swap_b32_e32 v140, v144                       // 00000000B5B4: 7F18B390
	v_permlane16_swap_b32_e32 v141, v145                       // 00000000B5B8: 7F1AB391
	v_permlane16_swap_b32_e32 v142, v146                       // 00000000B5BC: 7F1CB392
	v_permlane16_swap_b32_e32 v143, v147                       // 00000000B5C0: 7F1EB393
	ds_bpermute_b32 v44, v35, v140                             // 00000000B5C4: D87E0000 2C008C23
	ds_bpermute_b32 v45, v35, v141                             // 00000000B5CC: D87E0000 2D008D23
	ds_bpermute_b32 v46, v35, v142                             // 00000000B5D4: D87E0000 2E008E23
	ds_bpermute_b32 v47, v35, v143                             // 00000000B5DC: D87E0000 2F008F23
	ds_bpermute_b32 v48, v35, v144                             // 00000000B5E4: D87E0000 30009023
	ds_bpermute_b32 v49, v35, v145                             // 00000000B5EC: D87E0000 31009123
	ds_bpermute_b32 v50, v35, v146                             // 00000000B5F4: D87E0000 32009223
	ds_bpermute_b32 v51, v35, v147                             // 00000000B5FC: D87E0000 33009323
	v_permlane16_swap_b32_e32 v148, v152                       // 00000000B604: 7F28B398
	v_permlane16_swap_b32_e32 v149, v153                       // 00000000B608: 7F2AB399
	v_permlane16_swap_b32_e32 v150, v154                       // 00000000B60C: 7F2CB39A
	v_permlane16_swap_b32_e32 v151, v155                       // 00000000B610: 7F2EB39B
	ds_bpermute_b32 v52, v35, v148                             // 00000000B614: D87E0000 34009423
	ds_bpermute_b32 v53, v35, v149                             // 00000000B61C: D87E0000 35009523
	ds_bpermute_b32 v54, v35, v150                             // 00000000B624: D87E0000 36009623
	ds_bpermute_b32 v55, v35, v151                             // 00000000B62C: D87E0000 37009723
	ds_bpermute_b32 v56, v35, v152                             // 00000000B634: D87E0000 38009823
	ds_bpermute_b32 v57, v35, v153                             // 00000000B63C: D87E0000 39009923
	ds_bpermute_b32 v58, v35, v154                             // 00000000B644: D87E0000 3A009A23
	ds_bpermute_b32 v59, v35, v155                             // 00000000B64C: D87E0000 3B009B23
	s_waitcnt lgkmcnt(12)                                      // 00000000B654: BF8CCC7F
	buffer_store_dwordx4 v[44:47], v219, s[8:11], 0 offen      // 00000000B658: E07C1000 80022CDB
	s_waitcnt lgkmcnt(8)                                       // 00000000B660: BF8CC87F
	buffer_store_dwordx4 v[48:51], v220, s[8:11], 0 offen      // 00000000B664: E07C1000 800230DC
	s_mov_b32 s56, 64                                          // 00000000B66C: BEB800C0
	v_add_u32_e32 v219, s56, v219                              // 00000000B670: 69B7B638
	v_add_u32_e32 v220, s56, v220                              // 00000000B674: 69B9B838
	s_waitcnt lgkmcnt(4)                                       // 00000000B678: BF8CC47F
	buffer_store_dwordx4 v[52:55], v219, s[8:11], 0 offen      // 00000000B67C: E07C1000 800234DB
	s_waitcnt lgkmcnt(0)                                       // 00000000B684: BF8CC07F
	buffer_store_dwordx4 v[56:59], v220, s[8:11], 0 offen      // 00000000B688: E07C1000 800238DC
	v_add_u32_e32 v219, s56, v219                              // 00000000B690: 69B7B638
	v_add_u32_e32 v220, s56, v220                              // 00000000B694: 69B9B838
	v_permlane16_swap_b32_e32 v156, v160                       // 00000000B698: 7F38B3A0
	v_permlane16_swap_b32_e32 v157, v161                       // 00000000B69C: 7F3AB3A1
	v_permlane16_swap_b32_e32 v158, v162                       // 00000000B6A0: 7F3CB3A2
	v_permlane16_swap_b32_e32 v159, v163                       // 00000000B6A4: 7F3EB3A3
	ds_bpermute_b32 v44, v35, v156                             // 00000000B6A8: D87E0000 2C009C23
	ds_bpermute_b32 v45, v35, v157                             // 00000000B6B0: D87E0000 2D009D23
	ds_bpermute_b32 v46, v35, v158                             // 00000000B6B8: D87E0000 2E009E23
	ds_bpermute_b32 v47, v35, v159                             // 00000000B6C0: D87E0000 2F009F23
	ds_bpermute_b32 v48, v35, v160                             // 00000000B6C8: D87E0000 3000A023
	ds_bpermute_b32 v49, v35, v161                             // 00000000B6D0: D87E0000 3100A123
	ds_bpermute_b32 v50, v35, v162                             // 00000000B6D8: D87E0000 3200A223
	ds_bpermute_b32 v51, v35, v163                             // 00000000B6E0: D87E0000 3300A323
	v_permlane16_swap_b32_e32 v164, v168                       // 00000000B6E8: 7F48B3A8
	v_permlane16_swap_b32_e32 v165, v169                       // 00000000B6EC: 7F4AB3A9
	v_permlane16_swap_b32_e32 v166, v170                       // 00000000B6F0: 7F4CB3AA
	v_permlane16_swap_b32_e32 v167, v171                       // 00000000B6F4: 7F4EB3AB
	ds_bpermute_b32 v52, v35, v164                             // 00000000B6F8: D87E0000 3400A423
	ds_bpermute_b32 v53, v35, v165                             // 00000000B700: D87E0000 3500A523
	ds_bpermute_b32 v54, v35, v166                             // 00000000B708: D87E0000 3600A623
	ds_bpermute_b32 v55, v35, v167                             // 00000000B710: D87E0000 3700A723
	ds_bpermute_b32 v56, v35, v168                             // 00000000B718: D87E0000 3800A823
	ds_bpermute_b32 v57, v35, v169                             // 00000000B720: D87E0000 3900A923
	ds_bpermute_b32 v58, v35, v170                             // 00000000B728: D87E0000 3A00AA23
	ds_bpermute_b32 v59, v35, v171                             // 00000000B730: D87E0000 3B00AB23
	s_waitcnt lgkmcnt(12)                                      // 00000000B738: BF8CCC7F
	buffer_store_dwordx4 v[44:47], v219, s[8:11], 0 offen      // 00000000B73C: E07C1000 80022CDB
	s_waitcnt lgkmcnt(8)                                       // 00000000B744: BF8CC87F
	buffer_store_dwordx4 v[48:51], v220, s[8:11], 0 offen      // 00000000B748: E07C1000 800230DC
	s_mov_b32 s56, 64                                          // 00000000B750: BEB800C0
	v_add_u32_e32 v219, s56, v219                              // 00000000B754: 69B7B638
	v_add_u32_e32 v220, s56, v220                              // 00000000B758: 69B9B838
	s_waitcnt lgkmcnt(4)                                       // 00000000B75C: BF8CC47F
	buffer_store_dwordx4 v[52:55], v219, s[8:11], 0 offen      // 00000000B760: E07C1000 800234DB
	s_waitcnt lgkmcnt(0)                                       // 00000000B768: BF8CC07F
	buffer_store_dwordx4 v[56:59], v220, s[8:11], 0 offen      // 00000000B76C: E07C1000 800238DC
	v_add_u32_e32 v219, s56, v219                              // 00000000B774: 69B7B638
	v_add_u32_e32 v220, s56, v220                              // 00000000B778: 69B9B838
	v_permlane16_swap_b32_e32 v172, v176                       // 00000000B77C: 7F58B3B0
	v_permlane16_swap_b32_e32 v173, v177                       // 00000000B780: 7F5AB3B1
	v_permlane16_swap_b32_e32 v174, v178                       // 00000000B784: 7F5CB3B2
	v_permlane16_swap_b32_e32 v175, v179                       // 00000000B788: 7F5EB3B3
	ds_bpermute_b32 v44, v35, v172                             // 00000000B78C: D87E0000 2C00AC23
	ds_bpermute_b32 v45, v35, v173                             // 00000000B794: D87E0000 2D00AD23
	ds_bpermute_b32 v46, v35, v174                             // 00000000B79C: D87E0000 2E00AE23
	ds_bpermute_b32 v47, v35, v175                             // 00000000B7A4: D87E0000 2F00AF23
	ds_bpermute_b32 v48, v35, v176                             // 00000000B7AC: D87E0000 3000B023
	ds_bpermute_b32 v49, v35, v177                             // 00000000B7B4: D87E0000 3100B123
	ds_bpermute_b32 v50, v35, v178                             // 00000000B7BC: D87E0000 3200B223
	ds_bpermute_b32 v51, v35, v179                             // 00000000B7C4: D87E0000 3300B323
	v_permlane16_swap_b32_e32 v180, v184                       // 00000000B7CC: 7F68B3B8
	v_permlane16_swap_b32_e32 v181, v185                       // 00000000B7D0: 7F6AB3B9
	v_permlane16_swap_b32_e32 v182, v186                       // 00000000B7D4: 7F6CB3BA
	v_permlane16_swap_b32_e32 v183, v187                       // 00000000B7D8: 7F6EB3BB
	ds_bpermute_b32 v52, v35, v180                             // 00000000B7DC: D87E0000 3400B423
	ds_bpermute_b32 v53, v35, v181                             // 00000000B7E4: D87E0000 3500B523
	ds_bpermute_b32 v54, v35, v182                             // 00000000B7EC: D87E0000 3600B623
	ds_bpermute_b32 v55, v35, v183                             // 00000000B7F4: D87E0000 3700B723
	ds_bpermute_b32 v56, v35, v184                             // 00000000B7FC: D87E0000 3800B823
	ds_bpermute_b32 v57, v35, v185                             // 00000000B804: D87E0000 3900B923
	ds_bpermute_b32 v58, v35, v186                             // 00000000B80C: D87E0000 3A00BA23
	ds_bpermute_b32 v59, v35, v187                             // 00000000B814: D87E0000 3B00BB23
	s_waitcnt lgkmcnt(12)                                      // 00000000B81C: BF8CCC7F
	buffer_store_dwordx4 v[44:47], v219, s[8:11], 0 offen      // 00000000B820: E07C1000 80022CDB
	s_waitcnt lgkmcnt(8)                                       // 00000000B828: BF8CC87F
	buffer_store_dwordx4 v[48:51], v220, s[8:11], 0 offen      // 00000000B82C: E07C1000 800230DC
	s_mov_b32 s56, 64                                          // 00000000B834: BEB800C0
	v_add_u32_e32 v219, s56, v219                              // 00000000B838: 69B7B638
	v_add_u32_e32 v220, s56, v220                              // 00000000B83C: 69B9B838
	s_waitcnt lgkmcnt(4)                                       // 00000000B840: BF8CC47F
	buffer_store_dwordx4 v[52:55], v219, s[8:11], 0 offen      // 00000000B844: E07C1000 800234DB
	s_waitcnt lgkmcnt(0)                                       // 00000000B84C: BF8CC07F
	buffer_store_dwordx4 v[56:59], v220, s[8:11], 0 offen      // 00000000B850: E07C1000 800238DC
	v_add_u32_e32 v219, s56, v219                              // 00000000B858: 69B7B638
	v_add_u32_e32 v220, s56, v220                              // 00000000B85C: 69B9B838
	v_permlane16_swap_b32_e32 v188, v192                       // 00000000B860: 7F78B3C0
	v_permlane16_swap_b32_e32 v189, v193                       // 00000000B864: 7F7AB3C1
	v_permlane16_swap_b32_e32 v190, v194                       // 00000000B868: 7F7CB3C2
	v_permlane16_swap_b32_e32 v191, v195                       // 00000000B86C: 7F7EB3C3
	ds_bpermute_b32 v44, v35, v188                             // 00000000B870: D87E0000 2C00BC23
	ds_bpermute_b32 v45, v35, v189                             // 00000000B878: D87E0000 2D00BD23
	ds_bpermute_b32 v46, v35, v190                             // 00000000B880: D87E0000 2E00BE23
	ds_bpermute_b32 v47, v35, v191                             // 00000000B888: D87E0000 2F00BF23
	ds_bpermute_b32 v48, v35, v192                             // 00000000B890: D87E0000 3000C023
	ds_bpermute_b32 v49, v35, v193                             // 00000000B898: D87E0000 3100C123
	ds_bpermute_b32 v50, v35, v194                             // 00000000B8A0: D87E0000 3200C223
	ds_bpermute_b32 v51, v35, v195                             // 00000000B8A8: D87E0000 3300C323
	v_permlane16_swap_b32_e32 v196, v200                       // 00000000B8B0: 7F88B3C8
	v_permlane16_swap_b32_e32 v197, v201                       // 00000000B8B4: 7F8AB3C9
	v_permlane16_swap_b32_e32 v198, v202                       // 00000000B8B8: 7F8CB3CA
	v_permlane16_swap_b32_e32 v199, v203                       // 00000000B8BC: 7F8EB3CB
	ds_bpermute_b32 v52, v35, v196                             // 00000000B8C0: D87E0000 3400C423
	ds_bpermute_b32 v53, v35, v197                             // 00000000B8C8: D87E0000 3500C523
	ds_bpermute_b32 v54, v35, v198                             // 00000000B8D0: D87E0000 3600C623
	ds_bpermute_b32 v55, v35, v199                             // 00000000B8D8: D87E0000 3700C723
	ds_bpermute_b32 v56, v35, v200                             // 00000000B8E0: D87E0000 3800C823
	ds_bpermute_b32 v57, v35, v201                             // 00000000B8E8: D87E0000 3900C923
	ds_bpermute_b32 v58, v35, v202                             // 00000000B8F0: D87E0000 3A00CA23
	ds_bpermute_b32 v59, v35, v203                             // 00000000B8F8: D87E0000 3B00CB23
	s_waitcnt lgkmcnt(12)                                      // 00000000B900: BF8CCC7F
	buffer_store_dwordx4 v[44:47], v219, s[8:11], 0 offen      // 00000000B904: E07C1000 80022CDB
	s_waitcnt lgkmcnt(8)                                       // 00000000B90C: BF8CC87F
	buffer_store_dwordx4 v[48:51], v220, s[8:11], 0 offen      // 00000000B910: E07C1000 800230DC
	s_mov_b32 s56, 64                                          // 00000000B918: BEB800C0
	v_add_u32_e32 v219, s56, v219                              // 00000000B91C: 69B7B638
	v_add_u32_e32 v220, s56, v220                              // 00000000B920: 69B9B838
	s_waitcnt lgkmcnt(4)                                       // 00000000B924: BF8CC47F
	buffer_store_dwordx4 v[52:55], v219, s[8:11], 0 offen      // 00000000B928: E07C1000 800234DB
	s_waitcnt lgkmcnt(0)                                       // 00000000B930: BF8CC07F
	buffer_store_dwordx4 v[56:59], v220, s[8:11], 0 offen      // 00000000B934: E07C1000 800238DC
	v_add_u32_e32 v219, s56, v219                              // 00000000B93C: 69B7B638
	v_add_u32_e32 v220, s56, v220                              // 00000000B940: 69B9B838
	buffer_store_dword v218, v221, s[12:15], 0 offen           // 00000000B944: E0701000 8003DADD
	s_branch label_9C60                                        // 00000000B94C: BF8201C4

000000000000b950 <label_9550>:
	s_mul_i32 s75, 0x400, s65                                  // 00000000B950: 924B41FF 00000400
	s_mov_b32 s56, s79                                         // 00000000B958: BEB8004F
	s_mul_i32 s56, s56, s75                                    // 00000000B95C: 92384B38
	s_add_u32 s88, s56, s88                                    // 00000000B960: 80585838
	s_addc_u32 s89, 0, s89                                     // 00000000B964: 82595980
	s_mul_i32 s56, s75, s81                                    // 00000000B968: 9238514B
	s_mov_b32 s90, s56                                         // 00000000B96C: BEDA0038
	s_mov_b32 s57, 0x8000                                      // 00000000B970: BEB900FF 00008000
	s_lshr_b32 s56, s7, 1                                      // 00000000B978: 8F388107
	s_mul_i32 s56, s56, s57                                    // 00000000B97C: 92383938
	s_mov_b32 s58, 0x200                                       // 00000000B980: BEBA00FF 00000200
	s_and_b32 s57, 1, s7                                       // 00000000B988: 86390781
	s_mul_i32 s57, s57, s58                                    // 00000000B98C: 92393A39
	s_add_u32 s56, s56, s57                                    // 00000000B990: 80383938
	v_lshrrev_b32_e32 v219, 2, v0                              // 00000000B994: 21B60082
	s_mov_b32 s57, 0x400                                       // 00000000B998: BEB900FF 00000400
	v_mul_i32_i24_e32 v219, s57, v219                          // 00000000B9A0: 0DB7B639
	v_and_b32_e32 v35, 3, v0                                   // 00000000B9A4: 26460083
	v_lshlrev_b32_e32 v35, 4, v35                              // 00000000B9A8: 24464684
	v_add_u32_e32 v219, v35, v219                              // 00000000B9AC: 69B7B723
	v_add_u32_e32 v219, s56, v219                              // 00000000B9B0: 69B7B638
	s_mov_b32 s57, 0x4000                                      // 00000000B9B4: BEB900FF 00004000
	v_add_u32_e32 v220, s57, v219                              // 00000000B9BC: 69B9B639
	s_mul_i32 s57, 4, s65                                      // 00000000B9C0: 92394184
	s_mul_i32 s56, s67, s57                                    // 00000000B9C4: 92383943
	s_mul_i32 s56, s79, s56                                    // 00000000B9C8: 9238384F
	s_add_u32 s96, s56, s96                                    // 00000000B9CC: 80606038
	s_addc_u32 s97, 0, s97                                     // 00000000B9D0: 82616180
	v_and_b32_e32 v221, 31, v0                                 // 00000000B9D4: 27BA009F
	v_lshlrev_b32_e32 v221, 2, v221                            // 00000000B9D8: 25BBBA82
	s_mul_i32 s58, 4, 32                                       // 00000000B9DC: 923AA084
	s_lshr_b32 s56, s7, 1                                      // 00000000B9E0: 8F388107
	s_mul_i32 s56, s56, s58                                    // 00000000B9E4: 92383A38
	v_add_u32_e64 v221, v221, s56                              // 00000000B9E8: D13400DD 000071DD
	v_and_b32_e32 v35, 1, v0                                   // 00000000B9F0: 26460081
	v_lshlrev_b32_e32 v35, 5, v35                              // 00000000B9F4: 24464685
	v_and_b32_e32 v36, 3, v0                                   // 00000000B9F8: 26480083
	v_lshrrev_b32_e32 v36, 1, v36                              // 00000000B9FC: 20484881
	v_lshlrev_b32_e32 v36, 4, v36                              // 00000000BA00: 24484884
	v_add_u32_e32 v35, v35, v36                                // 00000000BA04: 68464923
	v_lshrrev_b32_e32 v36, 2, v0                               // 00000000BA08: 20480082
	v_add_u32_e32 v35, v35, v36                                // 00000000BA0C: 68464923
	v_lshlrev_b32_e32 v35, 2, v35                              // 00000000BA10: 24464682
	v_lshlrev_b32_e32 v37, 4, v0                               // 00000000BA14: 244A0084
	v_cvt_pk_bf16_f32 v76, v76, v77                            // 00000000BA18: D268004C 00029B4C
	v_cvt_pk_bf16_f32 v77, v78, v79                            // 00000000BA20: D268004D 00029F4E
	v_cvt_pk_bf16_f32 v78, v80, v81                            // 00000000BA28: D268004E 0002A350
	v_cvt_pk_bf16_f32 v79, v82, v83                            // 00000000BA30: D268004F 0002A752
	v_cvt_pk_bf16_f32 v80, v84, v85                            // 00000000BA38: D2680050 0002AB54
	v_cvt_pk_bf16_f32 v81, v86, v87                            // 00000000BA40: D2680051 0002AF56
	v_cvt_pk_bf16_f32 v82, v88, v89                            // 00000000BA48: D2680052 0002B358
	v_cvt_pk_bf16_f32 v83, v90, v91                            // 00000000BA50: D2680053 0002B75A
	v_permlane32_swap_b32_e32 v76, v78                         // 00000000BA58: 7E98B54E
	v_permlane32_swap_b32_e32 v77, v79                         // 00000000BA5C: 7E9AB54F
	v_permlane32_swap_b32_e32 v80, v82                         // 00000000BA60: 7EA0B552
	v_permlane32_swap_b32_e32 v81, v83                         // 00000000BA64: 7EA2B553
	s_nop 1                                                    // 00000000BA68: BF800001
	v_permlane16_swap_b32_e32 v76, v80                         // 00000000BA6C: 7E98B350
	v_permlane16_swap_b32_e32 v77, v81                         // 00000000BA70: 7E9AB351
	v_permlane16_swap_b32_e32 v78, v82                         // 00000000BA74: 7E9CB352
	v_permlane16_swap_b32_e32 v79, v83                         // 00000000BA78: 7E9EB353
	ds_bpermute_b32 v44, v35, v76                              // 00000000BA7C: D87E0000 2C004C23
	ds_bpermute_b32 v45, v35, v77                              // 00000000BA84: D87E0000 2D004D23
	ds_bpermute_b32 v46, v35, v78                              // 00000000BA8C: D87E0000 2E004E23
	ds_bpermute_b32 v47, v35, v79                              // 00000000BA94: D87E0000 2F004F23
	ds_bpermute_b32 v48, v35, v80                              // 00000000BA9C: D87E0000 30005023
	ds_bpermute_b32 v49, v35, v81                              // 00000000BAA4: D87E0000 31005123
	ds_bpermute_b32 v50, v35, v82                              // 00000000BAAC: D87E0000 32005223
	ds_bpermute_b32 v51, v35, v83                              // 00000000BAB4: D87E0000 33005323
	s_waitcnt lgkmcnt(4)                                       // 00000000BABC: BF8CC47F
	buffer_store_dwordx4 v[44:47], v219, s[88:91], 0 offen     // 00000000BAC0: E07C1000 80162CDB
	s_mov_b32 s56, 64                                          // 00000000BAC8: BEB800C0
	v_add_u32_e32 v219, s56, v219                              // 00000000BACC: 69B7B638
	s_waitcnt lgkmcnt(0)                                       // 00000000BAD0: BF8CC07F
	buffer_store_dwordx4 v[48:51], v220, s[88:91], 0 offen     // 00000000BAD4: E07C1000 801630DC
	v_add_u32_e32 v220, s56, v220                              // 00000000BADC: 69B9B838
	v_cvt_pk_bf16_f32 v76, v92, v93                            // 00000000BAE0: D268004C 0002BB5C
	v_cvt_pk_bf16_f32 v77, v94, v95                            // 00000000BAE8: D268004D 0002BF5E
	v_cvt_pk_bf16_f32 v78, v96, v97                            // 00000000BAF0: D268004E 0002C360
	v_cvt_pk_bf16_f32 v79, v98, v99                            // 00000000BAF8: D268004F 0002C762
	v_cvt_pk_bf16_f32 v80, v100, v101                          // 00000000BB00: D2680050 0002CB64
	v_cvt_pk_bf16_f32 v81, v102, v103                          // 00000000BB08: D2680051 0002CF66
	v_cvt_pk_bf16_f32 v82, v104, v105                          // 00000000BB10: D2680052 0002D368
	v_cvt_pk_bf16_f32 v83, v106, v107                          // 00000000BB18: D2680053 0002D76A
	v_permlane32_swap_b32_e32 v76, v78                         // 00000000BB20: 7E98B54E
	v_permlane32_swap_b32_e32 v77, v79                         // 00000000BB24: 7E9AB54F
	v_permlane32_swap_b32_e32 v80, v82                         // 00000000BB28: 7EA0B552
	v_permlane32_swap_b32_e32 v81, v83                         // 00000000BB2C: 7EA2B553
	s_nop 1                                                    // 00000000BB30: BF800001
	v_permlane16_swap_b32_e32 v76, v80                         // 00000000BB34: 7E98B350
	v_permlane16_swap_b32_e32 v77, v81                         // 00000000BB38: 7E9AB351
	v_permlane16_swap_b32_e32 v78, v82                         // 00000000BB3C: 7E9CB352
	v_permlane16_swap_b32_e32 v79, v83                         // 00000000BB40: 7E9EB353
	ds_bpermute_b32 v44, v35, v76                              // 00000000BB44: D87E0000 2C004C23
	ds_bpermute_b32 v45, v35, v77                              // 00000000BB4C: D87E0000 2D004D23
	ds_bpermute_b32 v46, v35, v78                              // 00000000BB54: D87E0000 2E004E23
	ds_bpermute_b32 v47, v35, v79                              // 00000000BB5C: D87E0000 2F004F23
	ds_bpermute_b32 v48, v35, v80                              // 00000000BB64: D87E0000 30005023
	ds_bpermute_b32 v49, v35, v81                              // 00000000BB6C: D87E0000 31005123
	ds_bpermute_b32 v50, v35, v82                              // 00000000BB74: D87E0000 32005223
	ds_bpermute_b32 v51, v35, v83                              // 00000000BB7C: D87E0000 33005323
	s_waitcnt lgkmcnt(4)                                       // 00000000BB84: BF8CC47F
	buffer_store_dwordx4 v[44:47], v219, s[88:91], 0 offen     // 00000000BB88: E07C1000 80162CDB
	s_mov_b32 s56, 64                                          // 00000000BB90: BEB800C0
	v_add_u32_e32 v219, s56, v219                              // 00000000BB94: 69B7B638
	s_waitcnt lgkmcnt(0)                                       // 00000000BB98: BF8CC07F
	buffer_store_dwordx4 v[48:51], v220, s[88:91], 0 offen     // 00000000BB9C: E07C1000 801630DC
	v_add_u32_e32 v220, s56, v220                              // 00000000BBA4: 69B9B838
	v_cvt_pk_bf16_f32 v76, v108, v109                          // 00000000BBA8: D268004C 0002DB6C
	v_cvt_pk_bf16_f32 v77, v110, v111                          // 00000000BBB0: D268004D 0002DF6E
	v_cvt_pk_bf16_f32 v78, v112, v113                          // 00000000BBB8: D268004E 0002E370
	v_cvt_pk_bf16_f32 v79, v114, v115                          // 00000000BBC0: D268004F 0002E772
	v_cvt_pk_bf16_f32 v80, v116, v117                          // 00000000BBC8: D2680050 0002EB74
	v_cvt_pk_bf16_f32 v81, v118, v119                          // 00000000BBD0: D2680051 0002EF76
	v_cvt_pk_bf16_f32 v82, v120, v121                          // 00000000BBD8: D2680052 0002F378
	v_cvt_pk_bf16_f32 v83, v122, v123                          // 00000000BBE0: D2680053 0002F77A
	v_permlane32_swap_b32_e32 v76, v78                         // 00000000BBE8: 7E98B54E
	v_permlane32_swap_b32_e32 v77, v79                         // 00000000BBEC: 7E9AB54F
	v_permlane32_swap_b32_e32 v80, v82                         // 00000000BBF0: 7EA0B552
	v_permlane32_swap_b32_e32 v81, v83                         // 00000000BBF4: 7EA2B553
	s_nop 1                                                    // 00000000BBF8: BF800001
	v_permlane16_swap_b32_e32 v76, v80                         // 00000000BBFC: 7E98B350
	v_permlane16_swap_b32_e32 v77, v81                         // 00000000BC00: 7E9AB351
	v_permlane16_swap_b32_e32 v78, v82                         // 00000000BC04: 7E9CB352
	v_permlane16_swap_b32_e32 v79, v83                         // 00000000BC08: 7E9EB353
	ds_bpermute_b32 v44, v35, v76                              // 00000000BC0C: D87E0000 2C004C23
	ds_bpermute_b32 v45, v35, v77                              // 00000000BC14: D87E0000 2D004D23
	ds_bpermute_b32 v46, v35, v78                              // 00000000BC1C: D87E0000 2E004E23
	ds_bpermute_b32 v47, v35, v79                              // 00000000BC24: D87E0000 2F004F23
	ds_bpermute_b32 v48, v35, v80                              // 00000000BC2C: D87E0000 30005023
	ds_bpermute_b32 v49, v35, v81                              // 00000000BC34: D87E0000 31005123
	ds_bpermute_b32 v50, v35, v82                              // 00000000BC3C: D87E0000 32005223
	ds_bpermute_b32 v51, v35, v83                              // 00000000BC44: D87E0000 33005323
	s_waitcnt lgkmcnt(4)                                       // 00000000BC4C: BF8CC47F
	buffer_store_dwordx4 v[44:47], v219, s[88:91], 0 offen     // 00000000BC50: E07C1000 80162CDB
	s_mov_b32 s56, 64                                          // 00000000BC58: BEB800C0
	v_add_u32_e32 v219, s56, v219                              // 00000000BC5C: 69B7B638
	s_waitcnt lgkmcnt(0)                                       // 00000000BC60: BF8CC07F
	buffer_store_dwordx4 v[48:51], v220, s[88:91], 0 offen     // 00000000BC64: E07C1000 801630DC
	v_add_u32_e32 v220, s56, v220                              // 00000000BC6C: 69B9B838
	v_cvt_pk_bf16_f32 v76, v124, v125                          // 00000000BC70: D268004C 0002FB7C
	v_cvt_pk_bf16_f32 v77, v126, v127                          // 00000000BC78: D268004D 0002FF7E
	v_cvt_pk_bf16_f32 v78, v128, v129                          // 00000000BC80: D268004E 00030380
	v_cvt_pk_bf16_f32 v79, v130, v131                          // 00000000BC88: D268004F 00030782
	v_cvt_pk_bf16_f32 v80, v132, v133                          // 00000000BC90: D2680050 00030B84
	v_cvt_pk_bf16_f32 v81, v134, v135                          // 00000000BC98: D2680051 00030F86
	v_cvt_pk_bf16_f32 v82, v136, v137                          // 00000000BCA0: D2680052 00031388
	v_cvt_pk_bf16_f32 v83, v138, v139                          // 00000000BCA8: D2680053 0003178A
	v_permlane32_swap_b32_e32 v76, v78                         // 00000000BCB0: 7E98B54E
	v_permlane32_swap_b32_e32 v77, v79                         // 00000000BCB4: 7E9AB54F
	v_permlane32_swap_b32_e32 v80, v82                         // 00000000BCB8: 7EA0B552
	v_permlane32_swap_b32_e32 v81, v83                         // 00000000BCBC: 7EA2B553
	s_nop 1                                                    // 00000000BCC0: BF800001
	v_permlane16_swap_b32_e32 v76, v80                         // 00000000BCC4: 7E98B350
	v_permlane16_swap_b32_e32 v77, v81                         // 00000000BCC8: 7E9AB351
	v_permlane16_swap_b32_e32 v78, v82                         // 00000000BCCC: 7E9CB352
	v_permlane16_swap_b32_e32 v79, v83                         // 00000000BCD0: 7E9EB353
	ds_bpermute_b32 v44, v35, v76                              // 00000000BCD4: D87E0000 2C004C23
	ds_bpermute_b32 v45, v35, v77                              // 00000000BCDC: D87E0000 2D004D23
	ds_bpermute_b32 v46, v35, v78                              // 00000000BCE4: D87E0000 2E004E23
	ds_bpermute_b32 v47, v35, v79                              // 00000000BCEC: D87E0000 2F004F23
	ds_bpermute_b32 v48, v35, v80                              // 00000000BCF4: D87E0000 30005023
	ds_bpermute_b32 v49, v35, v81                              // 00000000BCFC: D87E0000 31005123
	ds_bpermute_b32 v50, v35, v82                              // 00000000BD04: D87E0000 32005223
	ds_bpermute_b32 v51, v35, v83                              // 00000000BD0C: D87E0000 33005323
	s_waitcnt lgkmcnt(4)                                       // 00000000BD14: BF8CC47F
	buffer_store_dwordx4 v[44:47], v219, s[88:91], 0 offen     // 00000000BD18: E07C1000 80162CDB
	s_mov_b32 s56, 64                                          // 00000000BD20: BEB800C0
	v_add_u32_e32 v219, s56, v219                              // 00000000BD24: 69B7B638
	s_waitcnt lgkmcnt(0)                                       // 00000000BD28: BF8CC07F
	buffer_store_dwordx4 v[48:51], v220, s[88:91], 0 offen     // 00000000BD2C: E07C1000 801630DC
	v_add_u32_e32 v220, s56, v220                              // 00000000BD34: 69B9B838
	v_cvt_pk_bf16_f32 v76, v140, v141                          // 00000000BD38: D268004C 00031B8C
	v_cvt_pk_bf16_f32 v77, v142, v143                          // 00000000BD40: D268004D 00031F8E
	v_cvt_pk_bf16_f32 v78, v144, v145                          // 00000000BD48: D268004E 00032390
	v_cvt_pk_bf16_f32 v79, v146, v147                          // 00000000BD50: D268004F 00032792
	v_cvt_pk_bf16_f32 v80, v148, v149                          // 00000000BD58: D2680050 00032B94
	v_cvt_pk_bf16_f32 v81, v150, v151                          // 00000000BD60: D2680051 00032F96
	v_cvt_pk_bf16_f32 v82, v152, v153                          // 00000000BD68: D2680052 00033398
	v_cvt_pk_bf16_f32 v83, v154, v155                          // 00000000BD70: D2680053 0003379A
	v_permlane32_swap_b32_e32 v76, v78                         // 00000000BD78: 7E98B54E
	v_permlane32_swap_b32_e32 v77, v79                         // 00000000BD7C: 7E9AB54F
	v_permlane32_swap_b32_e32 v80, v82                         // 00000000BD80: 7EA0B552
	v_permlane32_swap_b32_e32 v81, v83                         // 00000000BD84: 7EA2B553
	s_nop 1                                                    // 00000000BD88: BF800001
	v_permlane16_swap_b32_e32 v76, v80                         // 00000000BD8C: 7E98B350
	v_permlane16_swap_b32_e32 v77, v81                         // 00000000BD90: 7E9AB351
	v_permlane16_swap_b32_e32 v78, v82                         // 00000000BD94: 7E9CB352
	v_permlane16_swap_b32_e32 v79, v83                         // 00000000BD98: 7E9EB353
	ds_bpermute_b32 v44, v35, v76                              // 00000000BD9C: D87E0000 2C004C23
	ds_bpermute_b32 v45, v35, v77                              // 00000000BDA4: D87E0000 2D004D23
	ds_bpermute_b32 v46, v35, v78                              // 00000000BDAC: D87E0000 2E004E23
	ds_bpermute_b32 v47, v35, v79                              // 00000000BDB4: D87E0000 2F004F23
	ds_bpermute_b32 v48, v35, v80                              // 00000000BDBC: D87E0000 30005023
	ds_bpermute_b32 v49, v35, v81                              // 00000000BDC4: D87E0000 31005123
	ds_bpermute_b32 v50, v35, v82                              // 00000000BDCC: D87E0000 32005223
	ds_bpermute_b32 v51, v35, v83                              // 00000000BDD4: D87E0000 33005323
	s_waitcnt lgkmcnt(4)                                       // 00000000BDDC: BF8CC47F
	buffer_store_dwordx4 v[44:47], v219, s[88:91], 0 offen     // 00000000BDE0: E07C1000 80162CDB
	s_mov_b32 s56, 64                                          // 00000000BDE8: BEB800C0
	v_add_u32_e32 v219, s56, v219                              // 00000000BDEC: 69B7B638
	s_waitcnt lgkmcnt(0)                                       // 00000000BDF0: BF8CC07F
	buffer_store_dwordx4 v[48:51], v220, s[88:91], 0 offen     // 00000000BDF4: E07C1000 801630DC
	v_add_u32_e32 v220, s56, v220                              // 00000000BDFC: 69B9B838
	v_cvt_pk_bf16_f32 v76, v156, v157                          // 00000000BE00: D268004C 00033B9C
	v_cvt_pk_bf16_f32 v77, v158, v159                          // 00000000BE08: D268004D 00033F9E
	v_cvt_pk_bf16_f32 v78, v160, v161                          // 00000000BE10: D268004E 000343A0
	v_cvt_pk_bf16_f32 v79, v162, v163                          // 00000000BE18: D268004F 000347A2
	v_cvt_pk_bf16_f32 v80, v164, v165                          // 00000000BE20: D2680050 00034BA4
	v_cvt_pk_bf16_f32 v81, v166, v167                          // 00000000BE28: D2680051 00034FA6
	v_cvt_pk_bf16_f32 v82, v168, v169                          // 00000000BE30: D2680052 000353A8
	v_cvt_pk_bf16_f32 v83, v170, v171                          // 00000000BE38: D2680053 000357AA
	v_permlane32_swap_b32_e32 v76, v78                         // 00000000BE40: 7E98B54E
	v_permlane32_swap_b32_e32 v77, v79                         // 00000000BE44: 7E9AB54F
	v_permlane32_swap_b32_e32 v80, v82                         // 00000000BE48: 7EA0B552
	v_permlane32_swap_b32_e32 v81, v83                         // 00000000BE4C: 7EA2B553
	s_nop 1                                                    // 00000000BE50: BF800001
	v_permlane16_swap_b32_e32 v76, v80                         // 00000000BE54: 7E98B350
	v_permlane16_swap_b32_e32 v77, v81                         // 00000000BE58: 7E9AB351
	v_permlane16_swap_b32_e32 v78, v82                         // 00000000BE5C: 7E9CB352
	v_permlane16_swap_b32_e32 v79, v83                         // 00000000BE60: 7E9EB353
	ds_bpermute_b32 v44, v35, v76                              // 00000000BE64: D87E0000 2C004C23
	ds_bpermute_b32 v45, v35, v77                              // 00000000BE6C: D87E0000 2D004D23
	ds_bpermute_b32 v46, v35, v78                              // 00000000BE74: D87E0000 2E004E23
	ds_bpermute_b32 v47, v35, v79                              // 00000000BE7C: D87E0000 2F004F23
	ds_bpermute_b32 v48, v35, v80                              // 00000000BE84: D87E0000 30005023
	ds_bpermute_b32 v49, v35, v81                              // 00000000BE8C: D87E0000 31005123
	ds_bpermute_b32 v50, v35, v82                              // 00000000BE94: D87E0000 32005223
	ds_bpermute_b32 v51, v35, v83                              // 00000000BE9C: D87E0000 33005323
	s_waitcnt lgkmcnt(4)                                       // 00000000BEA4: BF8CC47F
	buffer_store_dwordx4 v[44:47], v219, s[88:91], 0 offen     // 00000000BEA8: E07C1000 80162CDB
	s_mov_b32 s56, 64                                          // 00000000BEB0: BEB800C0
	v_add_u32_e32 v219, s56, v219                              // 00000000BEB4: 69B7B638
	s_waitcnt lgkmcnt(0)                                       // 00000000BEB8: BF8CC07F
	buffer_store_dwordx4 v[48:51], v220, s[88:91], 0 offen     // 00000000BEBC: E07C1000 801630DC
	v_add_u32_e32 v220, s56, v220                              // 00000000BEC4: 69B9B838
	v_cvt_pk_bf16_f32 v76, v172, v173                          // 00000000BEC8: D268004C 00035BAC
	v_cvt_pk_bf16_f32 v77, v174, v175                          // 00000000BED0: D268004D 00035FAE
	v_cvt_pk_bf16_f32 v78, v176, v177                          // 00000000BED8: D268004E 000363B0
	v_cvt_pk_bf16_f32 v79, v178, v179                          // 00000000BEE0: D268004F 000367B2
	v_cvt_pk_bf16_f32 v80, v180, v181                          // 00000000BEE8: D2680050 00036BB4
	v_cvt_pk_bf16_f32 v81, v182, v183                          // 00000000BEF0: D2680051 00036FB6
	v_cvt_pk_bf16_f32 v82, v184, v185                          // 00000000BEF8: D2680052 000373B8
	v_cvt_pk_bf16_f32 v83, v186, v187                          // 00000000BF00: D2680053 000377BA
	v_permlane32_swap_b32_e32 v76, v78                         // 00000000BF08: 7E98B54E
	v_permlane32_swap_b32_e32 v77, v79                         // 00000000BF0C: 7E9AB54F
	v_permlane32_swap_b32_e32 v80, v82                         // 00000000BF10: 7EA0B552
	v_permlane32_swap_b32_e32 v81, v83                         // 00000000BF14: 7EA2B553
	s_nop 1                                                    // 00000000BF18: BF800001
	v_permlane16_swap_b32_e32 v76, v80                         // 00000000BF1C: 7E98B350
	v_permlane16_swap_b32_e32 v77, v81                         // 00000000BF20: 7E9AB351
	v_permlane16_swap_b32_e32 v78, v82                         // 00000000BF24: 7E9CB352
	v_permlane16_swap_b32_e32 v79, v83                         // 00000000BF28: 7E9EB353
	ds_bpermute_b32 v44, v35, v76                              // 00000000BF2C: D87E0000 2C004C23
	ds_bpermute_b32 v45, v35, v77                              // 00000000BF34: D87E0000 2D004D23
	ds_bpermute_b32 v46, v35, v78                              // 00000000BF3C: D87E0000 2E004E23
	ds_bpermute_b32 v47, v35, v79                              // 00000000BF44: D87E0000 2F004F23
	ds_bpermute_b32 v48, v35, v80                              // 00000000BF4C: D87E0000 30005023
	ds_bpermute_b32 v49, v35, v81                              // 00000000BF54: D87E0000 31005123
	ds_bpermute_b32 v50, v35, v82                              // 00000000BF5C: D87E0000 32005223
	ds_bpermute_b32 v51, v35, v83                              // 00000000BF64: D87E0000 33005323
	s_waitcnt lgkmcnt(4)                                       // 00000000BF6C: BF8CC47F
	buffer_store_dwordx4 v[44:47], v219, s[88:91], 0 offen     // 00000000BF70: E07C1000 80162CDB
	s_mov_b32 s56, 64                                          // 00000000BF78: BEB800C0
	v_add_u32_e32 v219, s56, v219                              // 00000000BF7C: 69B7B638
	s_waitcnt lgkmcnt(0)                                       // 00000000BF80: BF8CC07F
	buffer_store_dwordx4 v[48:51], v220, s[88:91], 0 offen     // 00000000BF84: E07C1000 801630DC
	v_add_u32_e32 v220, s56, v220                              // 00000000BF8C: 69B9B838
	v_cvt_pk_bf16_f32 v76, v188, v189                          // 00000000BF90: D268004C 00037BBC
	v_cvt_pk_bf16_f32 v77, v190, v191                          // 00000000BF98: D268004D 00037FBE
	v_cvt_pk_bf16_f32 v78, v192, v193                          // 00000000BFA0: D268004E 000383C0
	v_cvt_pk_bf16_f32 v79, v194, v195                          // 00000000BFA8: D268004F 000387C2
	v_cvt_pk_bf16_f32 v80, v196, v197                          // 00000000BFB0: D2680050 00038BC4
	v_cvt_pk_bf16_f32 v81, v198, v199                          // 00000000BFB8: D2680051 00038FC6
	v_cvt_pk_bf16_f32 v82, v200, v201                          // 00000000BFC0: D2680052 000393C8
	v_cvt_pk_bf16_f32 v83, v202, v203                          // 00000000BFC8: D2680053 000397CA
	v_permlane32_swap_b32_e32 v76, v78                         // 00000000BFD0: 7E98B54E
	v_permlane32_swap_b32_e32 v77, v79                         // 00000000BFD4: 7E9AB54F
	v_permlane32_swap_b32_e32 v80, v82                         // 00000000BFD8: 7EA0B552
	v_permlane32_swap_b32_e32 v81, v83                         // 00000000BFDC: 7EA2B553
	s_nop 1                                                    // 00000000BFE0: BF800001
	v_permlane16_swap_b32_e32 v76, v80                         // 00000000BFE4: 7E98B350
	v_permlane16_swap_b32_e32 v77, v81                         // 00000000BFE8: 7E9AB351
	v_permlane16_swap_b32_e32 v78, v82                         // 00000000BFEC: 7E9CB352
	v_permlane16_swap_b32_e32 v79, v83                         // 00000000BFF0: 7E9EB353
	ds_bpermute_b32 v44, v35, v76                              // 00000000BFF4: D87E0000 2C004C23
	ds_bpermute_b32 v45, v35, v77                              // 00000000BFFC: D87E0000 2D004D23
	ds_bpermute_b32 v46, v35, v78                              // 00000000C004: D87E0000 2E004E23
	ds_bpermute_b32 v47, v35, v79                              // 00000000C00C: D87E0000 2F004F23
	ds_bpermute_b32 v48, v35, v80                              // 00000000C014: D87E0000 30005023
	ds_bpermute_b32 v49, v35, v81                              // 00000000C01C: D87E0000 31005123
	ds_bpermute_b32 v50, v35, v82                              // 00000000C024: D87E0000 32005223
	ds_bpermute_b32 v51, v35, v83                              // 00000000C02C: D87E0000 33005323
	s_waitcnt lgkmcnt(4)                                       // 00000000C034: BF8CC47F
	buffer_store_dwordx4 v[44:47], v219, s[88:91], 0 offen     // 00000000C038: E07C1000 80162CDB
	s_mov_b32 s56, 64                                          // 00000000C040: BEB800C0
	v_add_u32_e32 v219, s56, v219                              // 00000000C044: 69B7B638
	s_waitcnt lgkmcnt(0)                                       // 00000000C048: BF8CC07F
	buffer_store_dwordx4 v[48:51], v220, s[88:91], 0 offen     // 00000000C04C: E07C1000 801630DC
	v_add_u32_e32 v220, s56, v220                              // 00000000C054: 69B9B838
	buffer_store_dword v218, v221, s[96:99], 0 offen           // 00000000C058: E0701000 8018DADD

000000000000c060 <label_9C60>:
	s_mov_b32 s56, 32                                          // 00000000C060: BEB800A0
	s_addk_i32 s85, 0x1                                        // 00000000C064: B7550001
	s_cmp_lt_i32 s85, s86                                      // 00000000C068: BF045655
	s_cbranch_scc1 label_00A4                                  // 00000000C06C: BF85D90D

000000000000c070 <label_9C70>:
	s_waitcnt vmcnt(0) expcnt(0) lgkmcnt(0)                    // 00000000C070: BF8C0000
	s_endpgm                                                   // 00000000C074: BF810000
